;; amdgpu-corpus repo=ROCm/rccl kind=compiled arch=gfx1100 opt=O3
	.text
	.amdgcn_target "amdgcn-amd-amdhsa--gfx1100"
	.amdhsa_code_object_version 6
	.p2align	2                               ; -- Begin function _ZN12_GLOBAL__N_17runRingI11rccl_float813FuncPreMulSumIS1_E7ProtoLLLi0ELi1ELi0EEEviiP15ncclDevWorkColl
	.type	_ZN12_GLOBAL__N_17runRingI11rccl_float813FuncPreMulSumIS1_E7ProtoLLLi0ELi1ELi0EEEviiP15ncclDevWorkColl,@function
_ZN12_GLOBAL__N_17runRingI11rccl_float813FuncPreMulSumIS1_E7ProtoLLLi0ELi1ELi0EEEviiP15ncclDevWorkColl: ; @_ZN12_GLOBAL__N_17runRingI11rccl_float813FuncPreMulSumIS1_E7ProtoLLLi0ELi1ELi0EEEviiP15ncclDevWorkColl
; %bb.0:
	s_waitcnt vmcnt(0) expcnt(0) lgkmcnt(0)
	s_cbranch_execnz .LBB0_19
; %bb.1:
	v_mov_b32_e32 v4, v0
	s_clause 0x2
	flat_load_b32 v0, v[2:3]
	flat_load_b128 v[5:8], v[2:3] offset:72
	flat_load_b64 v[17:18], v[2:3] offset:88
	s_mov_b32 s0, exec_lo
                                        ; implicit-def: $vgpr25_vgpr26
	s_waitcnt vmcnt(2) lgkmcnt(2)
	v_and_b32_e32 v11, 0xff, v0
	v_bfe_u32 v10, v0, 8, 8
	s_delay_alu instid0(VALU_DEP_2) | instskip(SKIP_3) | instid1(VALU_DEP_1)
	v_not_b32_e32 v0, v11
	ds_load_b32 v9, v0
	ds_load_b64 v[23:24], v0
	v_add_nc_u32_e32 v12, v10, v0
	v_ashrrev_i32_e32 v13, 31, v12
	s_waitcnt vmcnt(1) lgkmcnt(3)
	v_mul_lo_u32 v14, v8, v12
	v_mad_u64_u32 v[19:20], null, v7, v12, 0
	s_delay_alu instid0(VALU_DEP_3) | instskip(NEXT) | instid1(VALU_DEP_1)
	v_mul_lo_u32 v12, v7, v13
	v_add3_u32 v54, v20, v12, v14
	s_waitcnt lgkmcnt(1)
	v_readfirstlane_b32 s10, v9
                                        ; implicit-def: $vgpr20_vgpr21
	v_cmpx_ne_u32_e64 v11, v9
	s_xor_b32 s0, exec_lo, s0
	s_cbranch_execz .LBB0_7
; %bb.2:
	s_mov_b32 s1, exec_lo
                                        ; implicit-def: $vgpr20_vgpr21
                                        ; implicit-def: $vgpr25_vgpr26
	v_cmpx_ne_u32_e64 v10, v9
	s_xor_b32 s1, exec_lo, s1
	s_cbranch_execz .LBB0_4
; %bb.3:
	flat_load_b64 v[10:11], v[2:3] offset:96
	v_add_nc_u32_e32 v0, v9, v0
	s_delay_alu instid0(VALU_DEP_1) | instskip(SKIP_2) | instid1(VALU_DEP_3)
	v_ashrrev_i32_e32 v9, 31, v0
	v_mul_lo_u32 v12, v8, v0
	v_mad_u64_u32 v[25:26], null, v7, v0, v[5:6]
	v_mul_lo_u32 v9, v7, v9
	s_delay_alu instid0(VALU_DEP_1)
	v_add3_u32 v26, v12, v26, v9
	s_waitcnt vmcnt(0) lgkmcnt(0)
	v_lshrrev_b64 v[20:21], 17, v[10:11]
.LBB0_4:
	s_and_not1_saveexec_b32 s1, s1
	s_cbranch_execz .LBB0_6
; %bb.5:
	flat_load_b32 v0, v[2:3] offset:100
	v_add_co_u32 v25, vcc_lo, v19, v5
	v_add_co_ci_u32_e32 v26, vcc_lo, v54, v6, vcc_lo
	s_waitcnt vmcnt(1)
	v_dual_mov_b32 v7, v17 :: v_dual_mov_b32 v8, v18
	s_waitcnt vmcnt(0) lgkmcnt(0)
	v_lshrrev_b32_e32 v20, 6, v0
.LBB0_6:
	s_or_b32 exec_lo, exec_lo, s1
.LBB0_7:
	s_and_not1_saveexec_b32 s0, s0
	s_cbranch_execz .LBB0_9
; %bb.8:
	flat_load_b64 v[7:8], v[2:3] offset:96
	v_mov_b32_e32 v25, 0
	v_mov_b32_e32 v26, 0
	s_waitcnt vmcnt(0) lgkmcnt(0)
	v_lshlrev_b64 v[20:21], 4, v[7:8]
	v_dual_mov_b32 v8, v6 :: v_dual_mov_b32 v7, v5
.LBB0_9:
	s_or_b32 exec_lo, exec_lo, s0
	s_clause 0x3
	flat_load_b64 v[15:16], v[2:3] offset:104
	flat_load_b128 v[9:12], v[2:3] offset:16
	flat_load_u16 v14, v[2:3] offset:8
	flat_load_b32 v13, v[2:3] offset:4
	s_mov_b32 s0, 0
	s_mov_b32 s2, exec_lo
                                        ; implicit-def: $sgpr1
	s_waitcnt vmcnt(3) lgkmcnt(3)
	v_and_b32_e32 v2, 0xff, v15
	s_delay_alu instid0(VALU_DEP_1)
	v_cmpx_lt_i16_e32 0x7f, v2
	s_xor_b32 s2, exec_lo, s2
	s_cbranch_execnz .LBB0_21
; %bb.10:
	s_or_saveexec_b32 s2, s2
	v_mov_b32_e32 v0, s1
	s_xor_b32 exec_lo, exec_lo, s2
	s_cbranch_execnz .LBB0_24
.LBB0_11:
	s_or_b32 exec_lo, exec_lo, s2
	s_and_saveexec_b32 s1, s0
	s_cbranch_execz .LBB0_13
.LBB0_12:
	v_and_b32_e32 v0, 7, v15
	v_bfe_u32 v16, v15, 3, 4
	s_delay_alu instid0(VALU_DEP_2) | instskip(NEXT) | instid1(VALU_DEP_2)
	v_clz_i32_u32_e32 v2, v0
	v_cmp_eq_u32_e32 vcc_lo, 0, v16
	s_delay_alu instid0(VALU_DEP_2) | instskip(NEXT) | instid1(VALU_DEP_1)
	v_min_u32_e32 v2, 32, v2
	v_subrev_nc_u32_e32 v3, 28, v2
	v_sub_nc_u32_e32 v2, 29, v2
	s_delay_alu instid0(VALU_DEP_1) | instskip(SKIP_1) | instid1(VALU_DEP_2)
	v_dual_cndmask_b32 v2, v16, v2 :: v_dual_lshlrev_b32 v3, v3, v15
	v_lshlrev_b32_e32 v15, 24, v15
	v_and_b32_e32 v3, 7, v3
	s_delay_alu instid0(VALU_DEP_3) | instskip(NEXT) | instid1(VALU_DEP_2)
	v_lshl_add_u32 v2, v2, 23, 0x3b800000
	v_cndmask_b32_e32 v0, v0, v3, vcc_lo
	s_delay_alu instid0(VALU_DEP_4) | instskip(NEXT) | instid1(VALU_DEP_2)
	v_and_b32_e32 v3, 0x80000000, v15
	v_lshlrev_b32_e32 v0, 20, v0
	s_delay_alu instid0(VALU_DEP_1)
	v_or3_b32 v0, v3, v2, v0
.LBB0_13:
	s_or_b32 exec_lo, exec_lo, s1
	s_load_b32 s0, s[8:9], 0x0
	v_mov_b32_e32 v2, 0
	s_mov_b32 s2, 0
	s_waitcnt lgkmcnt(0)
	s_cmp_lt_u32 s12, s0
	s_cselect_b32 s0, 12, 18
	s_delay_alu instid0(SALU_CYCLE_1)
	s_add_u32 s0, s8, s0
	s_addc_u32 s1, s9, 0
	global_load_u16 v55, v2, s[0:1]
	s_cbranch_execnz .LBB0_25
; %bb.14:
	ds_load_b32 v2, v0
	s_waitcnt vmcnt(1)
	v_lshrrev_b64 v[13:14], 31, v[13:14]
	s_delay_alu instid0(VALU_DEP_1)
	v_and_b32_e32 v14, 3, v13
	v_and_b32_e32 v13, 31, v4
	s_waitcnt lgkmcnt(0)
	v_cmp_gt_i32_e32 vcc_lo, 0, v2
	v_readfirstlane_b32 s1, v2
	s_cbranch_vccnz .LBB0_27
; %bb.15:
	v_cmp_eq_u32_e32 vcc_lo, 0, v13
	s_cbranch_execnz .LBB0_31
; %bb.16:
	ds_load_b64 v[15:16], v0
	v_mov_b32_e32 v3, 0
	v_and_b32_e32 v21, 0xffff, v14
	s_mov_b32 s2, 1
	s_delay_alu instid0(VALU_DEP_2) | instskip(SKIP_1) | instid1(VALU_DEP_1)
	v_lshlrev_b64 v[2:3], 3, v[2:3]
	s_waitcnt lgkmcnt(0)
	v_add_co_u32 v2, s0, v15, v2
	s_delay_alu instid0(VALU_DEP_1)
	v_add_co_ci_u32_e64 v3, s0, v16, v3, s0
	flat_load_b64 v[2:3], v[2:3]
	s_waitcnt vmcnt(0) lgkmcnt(0)
	v_mad_u64_u32 v[15:16], null, 0xa8, v21, v[2:3]
	s_clause 0x1
	flat_load_b64 v[29:30], v[15:16] offset:504
	flat_load_b64 v[32:33], v[15:16] offset:608
	v_add_co_u32 v2, s0, 0x1f8, v15
	s_delay_alu instid0(VALU_DEP_1) | instskip(NEXT) | instid1(VALU_DEP_1)
	v_add_co_ci_u32_e64 v3, s0, 0, v16, s0
	v_dual_cndmask_b32 v27, 0, v2 :: v_dual_cndmask_b32 v28, 0, v3
	s_cbranch_execz .LBB0_28
.LBB0_17:
	s_trap 2
	s_sendmsg_rtn_b32 s0, sendmsg(MSG_RTN_GET_DOORBELL)
	s_mov_b32 ttmp2, m0
	s_waitcnt lgkmcnt(0)
	s_and_b32 s0, s0, 0x3ff
	s_delay_alu instid0(SALU_CYCLE_1) | instskip(NEXT) | instid1(SALU_CYCLE_1)
	s_bitset1_b32 s0, 10
	s_mov_b32 m0, s0
	s_sendmsg sendmsg(MSG_INTERRUPT)
	s_mov_b32 m0, ttmp2
.LBB0_18:                               ; =>This Inner Loop Header: Depth=1
	s_sethalt 5
	s_branch .LBB0_18
.LBB0_19:
	s_trap 2
	s_sendmsg_rtn_b32 s0, sendmsg(MSG_RTN_GET_DOORBELL)
	s_mov_b32 ttmp2, m0
	s_waitcnt lgkmcnt(0)
	s_and_b32 s0, s0, 0x3ff
	s_delay_alu instid0(SALU_CYCLE_1) | instskip(NEXT) | instid1(SALU_CYCLE_1)
	s_bitset1_b32 s0, 10
	s_mov_b32 m0, s0
	s_sendmsg sendmsg(MSG_INTERRUPT)
	s_mov_b32 m0, ttmp2
.LBB0_20:                               ; =>This Inner Loop Header: Depth=1
	s_sethalt 5
	s_branch .LBB0_20
.LBB0_21:
	s_mov_b32 s0, -1
	s_mov_b32 s3, exec_lo
                                        ; implicit-def: $sgpr1
	v_cmpx_eq_u16_e32 0x80, v2
; %bb.22:
	s_mov_b32 s1, 0x7f800001
	s_xor_b32 s0, exec_lo, -1
; %bb.23:
	s_or_b32 exec_lo, exec_lo, s3
	s_delay_alu instid0(SALU_CYCLE_1)
	s_and_b32 s0, s0, exec_lo
                                        ; implicit-def: $vgpr2
	s_or_saveexec_b32 s2, s2
	v_mov_b32_e32 v0, s1
	s_xor_b32 exec_lo, exec_lo, s2
	s_cbranch_execz .LBB0_11
.LBB0_24:
	v_cmp_ne_u16_e32 vcc_lo, 0, v2
	v_mov_b32_e32 v0, 0
	s_and_not1_b32 s0, s0, exec_lo
	s_and_b32 s1, vcc_lo, exec_lo
	s_delay_alu instid0(SALU_CYCLE_1)
	s_or_b32 s0, s0, s1
	s_or_b32 exec_lo, exec_lo, s2
	s_and_saveexec_b32 s1, s0
	s_cbranch_execnz .LBB0_12
	s_branch .LBB0_13
.LBB0_25:
	s_trap 2
	s_sendmsg_rtn_b32 s0, sendmsg(MSG_RTN_GET_DOORBELL)
	s_mov_b32 ttmp2, m0
	s_waitcnt lgkmcnt(0)
	s_and_b32 s0, s0, 0x3ff
	s_delay_alu instid0(SALU_CYCLE_1) | instskip(NEXT) | instid1(SALU_CYCLE_1)
	s_bitset1_b32 s0, 10
	s_mov_b32 m0, s0
	s_sendmsg sendmsg(MSG_INTERRUPT)
	s_mov_b32 m0, ttmp2
.LBB0_26:                               ; =>This Inner Loop Header: Depth=1
	s_sethalt 5
	s_branch .LBB0_26
.LBB0_27:
	v_mov_b32_e32 v27, 0
	v_mov_b32_e32 v28, 0
                                        ; implicit-def: $vgpr32_vgpr33
                                        ; implicit-def: $vgpr29_vgpr30
	s_cbranch_execnz .LBB0_17
.LBB0_28:
	ds_load_b32 v2, v0
	v_mov_b32_e32 v36, 0
	v_mov_b32_e32 v37, 0
	s_waitcnt lgkmcnt(0)
	v_cmp_gt_i32_e32 vcc_lo, 0, v2
	s_cbranch_vccnz .LBB0_33
; %bb.29:
	s_cbranch_execnz .LBB0_1029
; %bb.30:
	ds_load_b64 v[15:16], v0
	v_mov_b32_e32 v3, 0
	s_delay_alu instid0(VALU_DEP_1) | instskip(SKIP_1) | instid1(VALU_DEP_1)
	v_lshlrev_b64 v[2:3], 3, v[2:3]
	s_waitcnt lgkmcnt(0)
	v_add_co_u32 v2, vcc_lo, v15, v2
	s_delay_alu instid0(VALU_DEP_2)
	v_add_co_ci_u32_e32 v3, vcc_lo, v16, v3, vcc_lo
	v_and_b32_e32 v16, 0xffff, v14
	v_cmp_eq_u32_e32 vcc_lo, 0, v13
	flat_load_b64 v[2:3], v[2:3]
	s_waitcnt vmcnt(0) lgkmcnt(0)
	v_mad_u64_u32 v[14:15], null, 0xa8, v16, v[2:3]
	s_clause 0x1
	flat_load_b64 v[38:39], v[14:15]
	flat_load_b64 v[21:22], v[14:15] offset:104
	v_dual_cndmask_b32 v35, 0, v15 :: v_dual_cndmask_b32 v34, 0, v14
	s_branch .LBB0_34
.LBB0_31:
	s_trap 2
	s_sendmsg_rtn_b32 s0, sendmsg(MSG_RTN_GET_DOORBELL)
	s_mov_b32 ttmp2, m0
	s_waitcnt lgkmcnt(0)
	s_and_b32 s0, s0, 0x3ff
	s_delay_alu instid0(SALU_CYCLE_1) | instskip(NEXT) | instid1(SALU_CYCLE_1)
	s_bitset1_b32 s0, 10
	s_mov_b32 m0, s0
	s_sendmsg sendmsg(MSG_INTERRUPT)
	s_mov_b32 m0, ttmp2
.LBB0_32:                               ; =>This Inner Loop Header: Depth=1
	s_sethalt 5
	s_branch .LBB0_32
.LBB0_33:
	s_delay_alu instid0(VALU_DEP_2)
	v_dual_mov_b32 v34, v36 :: v_dual_mov_b32 v35, v37
                                        ; implicit-def: $vgpr21_vgpr22
                                        ; implicit-def: $vgpr38_vgpr39
.LBB0_34:
	v_subrev_nc_u32_e32 v2, 32, v1
	v_cmp_gt_u32_e64 s0, s2, v13
                                        ; implicit-def: $vgpr48_vgpr49
	s_delay_alu instid0(VALU_DEP_2) | instskip(NEXT) | instid1(VALU_DEP_2)
	v_cmp_le_i32_e32 vcc_lo, v2, v4
	s_and_b32 s12, vcc_lo, s0
	s_delay_alu instid0(SALU_CYCLE_1)
	s_and_saveexec_b32 s0, s12
; %bb.35:
	s_clause 0x1
	flat_load_b64 v[36:37], v[27:28] offset:56
	flat_load_b64 v[48:49], v[27:28] offset:104
; %bb.36:
	s_or_b32 exec_lo, exec_lo, s0
	v_mov_b32_e32 v2, 0
	v_mov_b32_e32 v3, 0
	v_cmp_gt_i32_e64 s0, s2, v4
                                        ; implicit-def: $vgpr52_vgpr53
	s_delay_alu instid0(VALU_DEP_2) | instskip(SKIP_1) | instid1(VALU_DEP_3)
	v_dual_mov_b32 v14, v3 :: v_dual_mov_b32 v13, v2
	v_dual_mov_b32 v51, v3 :: v_dual_mov_b32 v50, v2
	s_and_saveexec_b32 s2, s0
	s_cbranch_execz .LBB0_38
; %bb.37:
	flat_load_b64 v[50:51], v[34:35] offset:56
	s_waitcnt vmcnt(0) lgkmcnt(0)
	flat_load_b64 v[52:53], v[50:51] glc dlc
	s_waitcnt vmcnt(0)
	flat_load_b128 v[13:16], v[34:35] offset:96
.LBB0_38:
	s_or_b32 exec_lo, exec_lo, s2
	s_waitcnt vmcnt(0)
	v_and_b32_e32 v98, 0xffff, v55
	s_mov_b32 s13, exec_lo
	v_cmpx_ne_u64_e32 0, v[7:8]
	s_cbranch_execz .LBB0_1017
; %bb.39:
	v_add_co_u32 v2, vcc_lo, v17, v5
	s_ashr_i32 s2, s1, 31
	v_add_co_ci_u32_e32 v3, vcc_lo, v18, v6, vcc_lo
	s_lshr_b32 s2, s2, 29
	s_ashr_i32 s11, s10, 31
	v_add_co_u32 v99, vcc_lo, v2, v19
	s_add_i32 s1, s1, s2
	s_lshl_b64 s[2:3], s[10:11], 2
	v_add_co_ci_u32_e32 v100, vcc_lo, v3, v54, vcc_lo
	v_add_co_u32 v3, vcc_lo, v23, s2
	v_dual_mov_b32 v55, 0 :: v_dual_and_b32 v64, 0x1fffff0, v20
	v_add_co_ci_u32_e32 v5, vcc_lo, s3, v24, vcc_lo
	v_ashrrev_i32_e32 v2, 31, v1
	s_delay_alu instid0(VALU_DEP_4) | instskip(NEXT) | instid1(VALU_DEP_4)
	v_add_co_u32 v66, vcc_lo, v3, -4
	v_dual_mov_b32 v65, v55 :: v_dual_lshlrev_b32 v102, 3, v4
	s_delay_alu instid0(VALU_DEP_4) | instskip(SKIP_2) | instid1(VALU_DEP_4)
	v_add_co_ci_u32_e32 v67, vcc_lo, -1, v5, vcc_lo
	v_dual_mov_b32 v130, 1 :: v_dual_and_b32 v5, 31, v31
	v_lshrrev_b32_e32 v6, 27, v2
	v_ashrrev_i32_e32 v113, 31, v102
	v_add_co_u32 v115, vcc_lo, v11, v102
	s_delay_alu instid0(VALU_DEP_4) | instskip(SKIP_4) | instid1(VALU_DEP_4)
	v_cmp_eq_u32_e64 s5, 0, v5
	v_ashrrev_i32_e32 v5, 31, v4
	v_add_nc_u32_e32 v3, v1, v6
	v_add_co_ci_u32_e32 v116, vcc_lo, v12, v113, vcc_lo
	v_add_co_u32 v117, vcc_lo, v9, v102
	v_lshlrev_b64 v[17:18], 4, v[4:5]
	v_add_co_ci_u32_e32 v118, vcc_lo, v10, v113, vcc_lo
	v_mov_b32_e32 v9, 0
	v_mov_b32_e32 v10, 0
	v_ashrrev_i32_e32 v101, 5, v3
	v_lshlrev_b32_e32 v103, 3, v1
	v_add_co_u32 v5, vcc_lo, v115, v25
	v_add_co_ci_u32_e32 v6, vcc_lo, v116, v26, vcc_lo
	s_ashr_i32 s4, s1, 3
	s_waitcnt lgkmcnt(1)
	v_add_co_u32 v128, vcc_lo, v38, v17
	s_ashr_i32 s14, s1, 7
	v_cmp_ne_u64_e64 s1, 0, v[50:51]
	s_waitcnt lgkmcnt(0)
	v_cmp_ne_u64_e64 s2, 0, v[13:14]
	v_cmp_ne_u64_e64 s6, 0, v[36:37]
	v_lshlrev_b64 v[68:69], 4, v[1:2]
	v_mov_b32_e32 v2, v9
	s_and_b32 s11, s4, -16
	v_cmp_ne_u32_e64 s3, 32, v1
	v_cmp_ne_u32_e64 s4, v98, v1
	v_ashrrev_i32_e32 v112, 31, v101
	v_ashrrev_i32_e32 v114, 31, v103
	v_lshlrev_b32_e32 v119, 6, v1
	v_add_co_ci_u32_e32 v129, vcc_lo, v39, v18, vcc_lo
	v_mov_b32_e32 v131, 0
	v_mov_b32_e32 v3, v10
	s_cmp_gt_i32 s10, 2
	s_mov_b32 s15, 0
	s_cselect_b32 s16, -1, 0
.LBB0_40:                               ; =>This Loop Header: Depth=1
                                        ;     Child Loop BB0_47 Depth 2
                                        ;     Child Loop BB0_67 Depth 2
	;; [unrolled: 1-line block ×5, first 2 shown]
                                        ;       Child Loop BB0_228 Depth 3
                                        ;       Child Loop BB0_248 Depth 3
	;; [unrolled: 1-line block ×3, first 2 shown]
                                        ;         Child Loop BB0_274 Depth 4
                                        ;       Child Loop BB0_612 Depth 3
                                        ;       Child Loop BB0_629 Depth 3
                                        ;     Child Loop BB0_634 Depth 2
                                        ;       Child Loop BB0_642 Depth 3
                                        ;     Child Loop BB0_1000 Depth 2
	s_waitcnt vmcnt(0) lgkmcnt(0)
	flat_load_b32 v19, v[66:67]
	v_sub_co_u32 v17, vcc_lo, v7, v9
	v_sub_co_ci_u32_e32 v18, vcc_lo, v8, v10, vcc_lo
	s_delay_alu instid0(VALU_DEP_1) | instskip(SKIP_1) | instid1(VALU_DEP_1)
	v_cmp_lt_u64_e32 vcc_lo, v[64:65], v[17:18]
	v_cndmask_b32_e32 v20, v17, v64, vcc_lo
	v_lshl_add_u32 v17, v20, 1, 14
	s_delay_alu instid0(VALU_DEP_1)
	v_and_b32_e32 v133, 0x7fffff0, v17
	s_and_saveexec_b32 s7, s1
	s_cbranch_execz .LBB0_58
; %bb.41:                               ;   in Loop: Header=BB0_40 Depth=1
	v_add_co_u32 v17, vcc_lo, v15, 1
	v_add_co_ci_u32_e32 v18, vcc_lo, 0, v16, vcc_lo
	v_add_co_u32 v70, vcc_lo, v52, 8
	v_add_co_ci_u32_e32 v71, vcc_lo, 0, v53, vcc_lo
	s_mov_b32 s8, exec_lo
	s_delay_alu instid0(VALU_DEP_1)
	v_cmpx_lt_u64_e64 v[70:71], v[17:18]
	s_cbranch_execz .LBB0_55
; %bb.42:                               ;   in Loop: Header=BB0_40 Depth=1
	s_sleep 1
	flat_load_b64 v[52:53], v[50:51] glc
	v_cmp_eq_u32_e32 vcc_lo, 0, v131
	s_and_saveexec_b32 s9, vcc_lo
	s_cbranch_execz .LBB0_54
; %bb.43:                               ;   in Loop: Header=BB0_40 Depth=1
	v_cndmask_b32_e64 v16, 0, 1, vcc_lo
	s_mov_b32 s17, 0
                                        ; implicit-def: $sgpr18
	s_branch .LBB0_47
.LBB0_44:                               ;   in Loop: Header=BB0_47 Depth=2
	s_or_b32 exec_lo, exec_lo, s21
	s_delay_alu instid0(SALU_CYCLE_1)
	s_or_not1_b32 s21, s22, exec_lo
.LBB0_45:                               ;   in Loop: Header=BB0_47 Depth=2
	s_or_b32 exec_lo, exec_lo, s20
	s_xor_b32 s20, s21, -1
	s_and_not1_b32 s18, s18, exec_lo
	s_and_b32 s20, s20, exec_lo
	s_delay_alu instid0(SALU_CYCLE_1)
	s_or_b32 s18, s18, s20
.LBB0_46:                               ;   in Loop: Header=BB0_47 Depth=2
	s_or_b32 exec_lo, exec_lo, s19
	s_delay_alu instid0(SALU_CYCLE_1) | instskip(NEXT) | instid1(SALU_CYCLE_1)
	s_and_b32 s19, exec_lo, s18
	s_or_b32 s17, s19, s17
	s_delay_alu instid0(SALU_CYCLE_1)
	s_and_not1_b32 exec_lo, exec_lo, s17
	s_cbranch_execz .LBB0_53
.LBB0_47:                               ;   Parent Loop BB0_40 Depth=1
                                        ; =>  This Inner Loop Header: Depth=2
	s_waitcnt vmcnt(0) lgkmcnt(0)
	v_add_co_u32 v70, vcc_lo, v52, 8
	v_add_co_ci_u32_e32 v71, vcc_lo, 0, v53, vcc_lo
	v_mov_b32_e32 v131, 0
	s_or_b32 s18, s18, exec_lo
	s_mov_b32 s19, exec_lo
	s_delay_alu instid0(VALU_DEP_2)
	v_cmpx_lt_u64_e64 v[70:71], v[17:18]
	s_cbranch_execz .LBB0_46
; %bb.48:                               ;   in Loop: Header=BB0_47 Depth=2
	s_sleep 1
	flat_load_b64 v[52:53], v[50:51] glc
	v_dual_mov_b32 v131, 0 :: v_dual_add_nc_u32 v16, 1, v16
	s_mov_b32 s21, -1
	s_mov_b32 s20, exec_lo
	s_delay_alu instid0(VALU_DEP_1)
	v_cmpx_eq_u32_e32 0x2710, v16
	s_cbranch_execz .LBB0_45
; %bb.49:                               ;   in Loop: Header=BB0_47 Depth=2
	s_cbranch_execnz .LBB0_1035
; %bb.50:                               ;   in Loop: Header=BB0_47 Depth=2
	ds_load_b64 v[70:71], v0
	v_dual_mov_b32 v16, 0 :: v_dual_mov_b32 v131, 0
	s_mov_b32 s22, -1
	s_mov_b32 s21, exec_lo
	s_waitcnt vmcnt(0) lgkmcnt(0)
	s_waitcnt_vscnt null, 0x0
	flat_load_b32 v54, v[70:71] glc
	s_waitcnt vmcnt(0) lgkmcnt(0)
	buffer_gl1_inv
	buffer_gl0_inv
	v_cmpx_ne_u32_e32 0, v54
	s_cbranch_execz .LBB0_44
; %bb.51:                               ;   in Loop: Header=BB0_47 Depth=2
	ds_store_b32 v0, v54
	s_cbranch_execnz .LBB0_1060
; %bb.52:                               ;   in Loop: Header=BB0_47 Depth=2
	v_mov_b32_e32 v131, 1
	s_xor_b32 s22, exec_lo, -1
	s_branch .LBB0_44
.LBB0_53:                               ;   in Loop: Header=BB0_40 Depth=1
	s_or_b32 exec_lo, exec_lo, s17
.LBB0_54:                               ;   in Loop: Header=BB0_40 Depth=1
	s_delay_alu instid0(SALU_CYCLE_1)
	s_or_b32 exec_lo, exec_lo, s9
.LBB0_55:                               ;   in Loop: Header=BB0_40 Depth=1
	s_delay_alu instid0(SALU_CYCLE_1)
	s_or_b32 exec_lo, exec_lo, s8
	s_and_saveexec_b32 s8, s2
	s_cbranch_execz .LBB0_57
; %bb.56:                               ;   in Loop: Header=BB0_40 Depth=1
	v_and_b32_e32 v54, 0x7ffffff8, v15
	v_and_b32_e32 v16, 7, v15
	s_delay_alu instid0(VALU_DEP_2) | instskip(NEXT) | instid1(VALU_DEP_2)
	v_cmp_eq_u64_e32 vcc_lo, 0x7ffffff8, v[54:55]
	v_mad_u64_u32 v[70:71], null, v16, 24, v[13:14]
	v_cndmask_b32_e64 v15, v133, s11, vcc_lo
	s_delay_alu instid0(VALU_DEP_1)
	v_ashrrev_i32_e32 v16, 31, v15
	flat_store_b64 v[70:71], v[15:16] offset:8 dlc
	s_waitcnt_vscnt null, 0x0
.LBB0_57:                               ;   in Loop: Header=BB0_40 Depth=1
	s_or_b32 exec_lo, exec_lo, s8
	v_dual_mov_b32 v15, v17 :: v_dual_mov_b32 v16, v18
.LBB0_58:                               ;   in Loop: Header=BB0_40 Depth=1
	s_or_b32 exec_lo, exec_lo, s7
	s_and_saveexec_b32 s7, s3
	s_cbranch_execz .LBB0_80
; %bb.59:                               ;   in Loop: Header=BB0_40 Depth=1
	s_and_saveexec_b32 s8, s4
	s_delay_alu instid0(SALU_CYCLE_1)
	s_xor_b32 s8, exec_lo, s8
	s_cbranch_execz .LBB0_77
; %bb.60:                               ;   in Loop: Header=BB0_40 Depth=1
	s_and_saveexec_b32 s9, s5
	s_cbranch_execz .LBB0_76
; %bb.61:                               ;   in Loop: Header=BB0_40 Depth=1
	s_mov_b32 s18, exec_lo
	s_mov_b32 s17, exec_lo
	v_mbcnt_lo_u32_b32 v17, s18, 0
	s_waitcnt vmcnt(0) lgkmcnt(0)
	s_waitcnt_vscnt null, 0x0
	buffer_gl1_inv
	buffer_gl0_inv
	v_cmpx_eq_u32_e32 0, v17
	s_cbranch_execz .LBB0_63
; %bb.62:                               ;   in Loop: Header=BB0_40 Depth=1
	s_bcnt1_i32_b32 s18, s18
	s_delay_alu instid0(SALU_CYCLE_1)
	v_mov_b32_e32 v54, s18
	ds_add_u64 v0, v[54:55]
	s_cbranch_execnz .LBB0_1054
.LBB0_63:                               ;   in Loop: Header=BB0_40 Depth=1
	s_or_b32 exec_lo, exec_lo, s17
	s_cbranch_execnz .LBB0_1041
; %bb.64:                               ;   in Loop: Header=BB0_40 Depth=1
	ds_load_b64 v[17:18], v0
	v_add_co_u32 v2, vcc_lo, v2, v101
	v_add_co_ci_u32_e32 v3, vcc_lo, v3, v112, vcc_lo
	s_mov_b32 s17, exec_lo
	s_waitcnt lgkmcnt(0)
	s_delay_alu instid0(VALU_DEP_1)
	v_cmpx_lt_u64_e64 v[17:18], v[2:3]
	s_cbranch_execz .LBB0_75
; %bb.65:                               ;   in Loop: Header=BB0_40 Depth=1
	s_mov_b32 s18, 0
	s_mov_b32 s21, 0
                                        ; implicit-def: $sgpr19
                                        ; implicit-def: $sgpr20
	s_branch .LBB0_67
.LBB0_66:                               ;   in Loop: Header=BB0_67 Depth=2
	s_or_b32 exec_lo, exec_lo, s24
	s_delay_alu instid0(SALU_CYCLE_1) | instskip(NEXT) | instid1(SALU_CYCLE_1)
	s_and_b32 s22, exec_lo, s23
	s_or_b32 s18, s22, s18
	s_and_not1_b32 s19, s19, exec_lo
	s_and_b32 s22, s20, exec_lo
	s_delay_alu instid0(SALU_CYCLE_1)
	s_or_b32 s19, s19, s22
	s_and_not1_b32 exec_lo, exec_lo, s18
	s_cbranch_execz .LBB0_73
.LBB0_67:                               ;   Parent Loop BB0_40 Depth=1
                                        ; =>  This Inner Loop Header: Depth=2
	s_add_i32 s21, s21, 1
                                        ; implicit-def: $sgpr23
	s_delay_alu instid0(SALU_CYCLE_1) | instskip(SKIP_1) | instid1(SALU_CYCLE_1)
	s_cmpk_lg_i32 s21, 0x2710
	s_cselect_b32 s22, -1, 0
	s_and_b32 vcc_lo, exec_lo, s22
	s_cbranch_vccz .LBB0_71
.LBB0_68:                               ;   in Loop: Header=BB0_67 Depth=2
	s_and_not1_b32 s20, s20, exec_lo
	s_and_b32 s24, s23, exec_lo
	s_mov_b32 s23, -1
	s_or_b32 s20, s20, s24
	s_and_saveexec_b32 s24, s22
	s_cbranch_execz .LBB0_66
; %bb.69:                               ;   in Loop: Header=BB0_67 Depth=2
	s_sleep 1
	s_cbranch_execnz .LBB0_1068
; %bb.70:                               ;   in Loop: Header=BB0_67 Depth=2
	ds_load_b64 v[17:18], v0
	s_and_not1_b32 s20, s20, exec_lo
	s_waitcnt lgkmcnt(0)
	v_cmp_ge_u64_e32 vcc_lo, v[17:18], v[2:3]
	s_or_not1_b32 s23, vcc_lo, exec_lo
	s_branch .LBB0_66
.LBB0_71:                               ;   in Loop: Header=BB0_67 Depth=2
	s_cbranch_execnz .LBB0_1076
; %bb.72:                               ;   in Loop: Header=BB0_67 Depth=2
	ds_load_b64 v[17:18], v0
	s_and_not1_b32 s22, s22, exec_lo
	s_mov_b32 s21, 0
	s_mov_b32 s23, -1
	s_waitcnt lgkmcnt(0)
	flat_load_b32 v17, v[17:18] glc
	s_waitcnt vmcnt(0) lgkmcnt(0)
	buffer_gl1_inv
	buffer_gl0_inv
	v_cmp_eq_u32_e32 vcc_lo, 0, v17
	s_and_b32 s24, vcc_lo, exec_lo
	s_delay_alu instid0(SALU_CYCLE_1)
	s_or_b32 s22, s22, s24
	s_branch .LBB0_68
.LBB0_73:                               ;   in Loop: Header=BB0_40 Depth=1
	s_or_b32 exec_lo, exec_lo, s18
	s_and_saveexec_b32 s18, s19
	s_delay_alu instid0(SALU_CYCLE_1)
	s_xor_b32 s18, exec_lo, s18
	s_cbranch_execz .LBB0_75
; %bb.74:                               ;   in Loop: Header=BB0_40 Depth=1
	ds_store_b32 v0, v130
	s_cbranch_execnz .LBB0_1101
.LBB0_75:                               ;   in Loop: Header=BB0_40 Depth=1
	s_or_b32 exec_lo, exec_lo, s17
	;;#ASMSTART
	s_wakeup
	;;#ASMEND
.LBB0_76:                               ;   in Loop: Header=BB0_40 Depth=1
	s_or_b32 exec_lo, exec_lo, s9
.LBB0_77:                               ;   in Loop: Header=BB0_40 Depth=1
	s_and_not1_saveexec_b32 s8, s8
	s_cbranch_execz .LBB0_79
; %bb.78:                               ;   in Loop: Header=BB0_40 Depth=1
	s_waitcnt vmcnt(0) lgkmcnt(0)
	s_waitcnt_vscnt null, 0x0
	buffer_gl1_inv
	buffer_gl0_inv
	s_barrier
.LBB0_79:                               ;   in Loop: Header=BB0_40 Depth=1
	s_or_b32 exec_lo, exec_lo, s8
.LBB0_80:                               ;   in Loop: Header=BB0_40 Depth=1
	s_delay_alu instid0(SALU_CYCLE_1) | instskip(SKIP_2) | instid1(VALU_DEP_2)
	s_or_b32 exec_lo, exec_lo, s7
	v_sub_nc_u32_e32 v132, v20, v102
	v_mov_b32_e32 v70, v4
	v_cmp_lt_i32_e64 s7, 0, v132
	s_delay_alu instid0(VALU_DEP_1)
	s_and_saveexec_b32 s9, s7
	s_cbranch_execz .LBB0_216
; %bb.81:                               ;   in Loop: Header=BB0_40 Depth=1
	v_dual_mov_b32 v70, v21 :: v_dual_and_b32 v17, 7, v21
	s_waitcnt vmcnt(0) lgkmcnt(0)
	v_ashrrev_i32_e32 v20, 31, v19
	v_mad_u64_u32 v[80:81], null, v99, v19, v[5:6]
	s_delay_alu instid0(VALU_DEP_3) | instskip(SKIP_1) | instid1(VALU_DEP_4)
	v_mul_lo_u32 v17, v17, s14
	v_mul_lo_u32 v82, v100, v19
	;; [unrolled: 1-line block ×4, first 2 shown]
	v_add_co_u32 v71, vcc_lo, 0, 0
	v_mov_b32_e32 v54, v132
	s_mov_b32 s17, 0
	v_ashrrev_i32_e32 v18, 31, v17
	v_add3_u32 v81, v82, v81, v84
	v_add_lshl_u32 v86, v5, v83, 3
	s_delay_alu instid0(VALU_DEP_3) | instskip(SKIP_2) | instid1(VALU_DEP_3)
	v_lshlrev_b64 v[19:20], 4, v[17:18]
	v_add_co_ci_u32_e32 v18, vcc_lo, 1, v70, vcc_lo
	v_mov_b32_e32 v70, v4
	v_add_co_u32 v82, vcc_lo, v128, v19
	s_delay_alu instid0(VALU_DEP_4)
	v_add_co_ci_u32_e32 v83, vcc_lo, v129, v20, vcc_lo
	s_branch .LBB0_85
.LBB0_82:                               ;   in Loop: Header=BB0_85 Depth=2
	s_or_b32 exec_lo, exec_lo, s8
	s_delay_alu instid0(VALU_DEP_1) | instskip(NEXT) | instid1(VALU_DEP_2)
	v_lshrrev_b32_e32 v135, 20, v135
	v_cmp_gt_i32_e32 vcc_lo, 16, v134
	v_min_i32_e32 v144, 15, v134
	v_lshrrev_b32_e32 v85, 24, v85
	s_delay_alu instid0(VALU_DEP_2) | instskip(NEXT) | instid1(VALU_DEP_2)
	v_dual_cndmask_b32 v135, 7, v135 :: v_dual_lshlrev_b32 v144, 3, v144
	v_and_b32_e32 v85, 0x80, v85
	s_delay_alu instid0(VALU_DEP_2) | instskip(NEXT) | instid1(VALU_DEP_3)
	v_or_b32_e32 v134, v134, v135
	v_and_b32_e32 v144, 0xf8, v144
	s_delay_alu instid0(VALU_DEP_2) | instskip(SKIP_1) | instid1(VALU_DEP_1)
	v_cmp_ne_u32_e32 vcc_lo, 0, v134
	v_and_b32_e32 v145, 7, v135
	v_or3_b32 v85, v85, v144, v145
	s_delay_alu instid0(VALU_DEP_1) | instskip(NEXT) | instid1(VALU_DEP_1)
	v_lshlrev_b32_e32 v85, 8, v85
	v_cndmask_b32_e32 v134, 0, v85, vcc_lo
.LBB0_83:                               ;   in Loop: Header=BB0_85 Depth=2
	s_or_b32 exec_lo, exec_lo, s19
.LBB0_84:                               ;   in Loop: Header=BB0_85 Depth=2
	s_delay_alu instid0(SALU_CYCLE_1)
	s_or_b32 exec_lo, exec_lo, s18
	v_and_b32_e32 v20, 0xff, v20
	v_lshlrev_b32_e32 v19, 8, v19
	v_or_b32_e32 v85, v134, v97
	v_or_b32_e32 v87, v96, v87
	v_sub_nc_u32_e32 v54, v54, v103
	v_lshlrev_b32_e32 v20, 16, v20
	v_add_co_u32 v80, vcc_lo, v80, v103
	v_add_co_ci_u32_e32 v81, vcc_lo, v81, v114, vcc_lo
	s_delay_alu instid0(VALU_DEP_3)
	v_lshl_or_b32 v84, v84, 24, v20
	v_mov_b32_e32 v20, v18
	v_perm_b32 v17, v19, v17, 0xc0c0500
	v_lshlrev_b32_e32 v19, 16, v85
	v_cmp_gt_i32_e32 vcc_lo, 1, v54
	v_add_nc_u32_e32 v70, v70, v1
	v_add_nc_u32_e32 v86, v86, v119
	v_or3_b32 v17, v84, v17, v71
	v_or3_b32 v19, v87, v19, v71
	s_or_b32 s17, vcc_lo, s17
	global_store_b128 v[82:83], v[17:20], off
	v_add_co_u32 v82, s8, v82, v68
	s_delay_alu instid0(VALU_DEP_1)
	v_add_co_ci_u32_e64 v83, s8, v83, v69, s8
	s_and_not1_b32 exec_lo, exec_lo, s17
	s_cbranch_execz .LBB0_215
.LBB0_85:                               ;   Parent Loop BB0_40 Depth=1
                                        ; =>  This Inner Loop Header: Depth=2
	v_dual_mov_b32 v20, v81 :: v_dual_and_b32 v19, -4, v80
	v_min_u32_e32 v84, 8, v54
	v_dual_mov_b32 v96, 0 :: v_dual_and_b32 v85, 3, v80
	v_mov_b32_e32 v87, 0
	flat_load_b32 v17, v[19:20] glc
	v_add_co_u32 v84, s8, v85, v84
	s_delay_alu instid0(VALU_DEP_1) | instskip(SKIP_1) | instid1(VALU_DEP_1)
	v_add_co_ci_u32_e64 v85, null, 0, 0, s8
	s_mov_b32 s8, exec_lo
	v_cmpx_lt_u64_e32 4, v[84:85]
	s_cbranch_execz .LBB0_87
; %bb.86:                               ;   in Loop: Header=BB0_85 Depth=2
	flat_load_b32 v96, v[19:20] offset:4 glc
.LBB0_87:                               ;   in Loop: Header=BB0_85 Depth=2
	s_or_b32 exec_lo, exec_lo, s8
	s_delay_alu instid0(SALU_CYCLE_1)
	s_mov_b32 s8, exec_lo
	v_cmpx_lt_u64_e32 8, v[84:85]
	s_cbranch_execz .LBB0_89
; %bb.88:                               ;   in Loop: Header=BB0_85 Depth=2
	flat_load_b32 v87, v[19:20] offset:8 glc
.LBB0_89:                               ;   in Loop: Header=BB0_85 Depth=2
	s_or_b32 exec_lo, exec_lo, s8
	s_waitcnt vmcnt(0) lgkmcnt(0)
	v_alignbit_b32 v84, v96, v17, v86
	s_mov_b32 s8, 0
	s_mov_b32 s19, exec_lo
                                        ; implicit-def: $sgpr18
	s_delay_alu instid0(VALU_DEP_1) | instskip(NEXT) | instid1(VALU_DEP_1)
	v_and_b32_e32 v19, 0xff, v84
	v_cmpx_lt_i16_e32 0x7f, v19
	s_xor_b32 s19, exec_lo, s19
	s_cbranch_execnz .LBB0_183
; %bb.90:                               ;   in Loop: Header=BB0_85 Depth=2
	s_or_saveexec_b32 s19, s19
	v_mov_b32_e32 v17, s18
	s_xor_b32 exec_lo, exec_lo, s19
	s_cbranch_execnz .LBB0_186
.LBB0_91:                               ;   in Loop: Header=BB0_85 Depth=2
	s_or_b32 exec_lo, exec_lo, s19
	s_and_saveexec_b32 s18, s8
	s_cbranch_execz .LBB0_93
.LBB0_92:                               ;   in Loop: Header=BB0_85 Depth=2
	v_and_b32_e32 v17, 7, v84
	v_bfe_u32 v85, v84, 3, 4
	v_lshlrev_b32_e32 v97, 24, v84
	s_delay_alu instid0(VALU_DEP_3) | instskip(NEXT) | instid1(VALU_DEP_3)
	v_clz_i32_u32_e32 v19, v17
	v_cmp_eq_u32_e32 vcc_lo, 0, v85
	s_delay_alu instid0(VALU_DEP_2) | instskip(NEXT) | instid1(VALU_DEP_1)
	v_min_u32_e32 v19, 32, v19
	v_subrev_nc_u32_e32 v20, 28, v19
	v_sub_nc_u32_e32 v19, 29, v19
	s_delay_alu instid0(VALU_DEP_1) | instskip(NEXT) | instid1(VALU_DEP_1)
	v_dual_cndmask_b32 v19, v85, v19 :: v_dual_lshlrev_b32 v20, v20, v84
	v_and_b32_e32 v20, 7, v20
	s_delay_alu instid0(VALU_DEP_2) | instskip(NEXT) | instid1(VALU_DEP_2)
	v_lshl_add_u32 v19, v19, 23, 0x3b800000
	v_dual_cndmask_b32 v17, v17, v20 :: v_dual_and_b32 v20, 0x80000000, v97
	s_delay_alu instid0(VALU_DEP_1) | instskip(NEXT) | instid1(VALU_DEP_1)
	v_lshlrev_b32_e32 v17, 20, v17
	v_or3_b32 v17, v20, v19, v17
.LBB0_93:                               ;   in Loop: Header=BB0_85 Depth=2
	s_or_b32 exec_lo, exec_lo, s18
	s_delay_alu instid0(VALU_DEP_1) | instskip(NEXT) | instid1(VALU_DEP_1)
	v_mul_f32_e32 v19, v0, v17
	v_and_b32_e32 v17, 0x7f800000, v19
	s_delay_alu instid0(VALU_DEP_1)
	v_cmp_ne_u32_e32 vcc_lo, 0x7f800000, v17
	v_mov_b32_e32 v17, 0x80
	s_and_saveexec_b32 s18, vcc_lo
	s_cbranch_execz .LBB0_101
; %bb.94:                               ;   in Loop: Header=BB0_85 Depth=2
	v_mov_b32_e32 v17, 0
	s_mov_b32 s19, exec_lo
	v_cmpx_ne_u32_e32 0, v19
	s_cbranch_execz .LBB0_100
; %bb.95:                               ;   in Loop: Header=BB0_85 Depth=2
	v_bfe_u32 v17, v19, 23, 8
	s_delay_alu instid0(VALU_DEP_1) | instskip(SKIP_1) | instid1(VALU_DEP_2)
	v_sub_nc_u32_e32 v85, 0x78, v17
	v_cmp_gt_u32_e32 vcc_lo, 0x79, v17
	v_dual_cndmask_b32 v85, 0, v85 :: v_dual_and_b32 v20, 0x7fffff, v19
	s_delay_alu instid0(VALU_DEP_1) | instskip(SKIP_2) | instid1(VALU_DEP_4)
	v_or_b32_e32 v97, 0x800000, v20
	v_cmp_eq_u32_e32 vcc_lo, 0, v17
	v_add_nc_u32_e32 v17, 0xffffff89, v17
	v_cndmask_b32_e64 v85, v85, 0x77, vcc_lo
	s_delay_alu instid0(VALU_DEP_4) | instskip(NEXT) | instid1(VALU_DEP_3)
	v_cndmask_b32_e32 v20, v97, v20, vcc_lo
	v_cndmask_b32_e64 v17, v17, 0xffffff8a, vcc_lo
	s_delay_alu instid0(VALU_DEP_3) | instskip(NEXT) | instid1(VALU_DEP_3)
	v_lshl_add_u32 v97, 0x100000, v85, -1
	v_lshrrev_b32_e32 v134, v85, v20
	v_lshlrev_b32_e64 v144, v85, 0x80000
	s_delay_alu instid0(VALU_DEP_4) | instskip(NEXT) | instid1(VALU_DEP_4)
	v_add_nc_u32_e32 v85, v85, v17
	v_and_b32_e32 v20, v97, v20
	s_delay_alu instid0(VALU_DEP_4) | instskip(NEXT) | instid1(VALU_DEP_2)
	v_bfe_u32 v135, v134, 20, 1
	v_cmp_eq_u32_e64 s8, v20, v144
	s_delay_alu instid0(VALU_DEP_2) | instskip(NEXT) | instid1(VALU_DEP_1)
	v_add_nc_u32_e32 v97, -1, v135
	v_cndmask_b32_e64 v20, 0, v97, s8
	v_lshrrev_b32_e32 v97, 23, v134
	s_mov_b32 s8, exec_lo
	s_delay_alu instid0(VALU_DEP_2) | instskip(NEXT) | instid1(VALU_DEP_2)
	v_add_nc_u32_e32 v20, v20, v134
	v_xor_b32_e32 v97, 1, v97
	s_delay_alu instid0(VALU_DEP_2) | instskip(NEXT) | instid1(VALU_DEP_1)
	v_and_b32_e32 v17, 0xfffff, v20
	v_add_nc_u32_e32 v20, v17, v134
                                        ; implicit-def: $vgpr17
	s_delay_alu instid0(VALU_DEP_3)
	v_cmpx_ne_u32_e64 v85, v97
	s_xor_b32 s8, exec_lo, s8
; %bb.96:                               ;   in Loop: Header=BB0_85 Depth=2
	s_delay_alu instid0(VALU_DEP_2) | instskip(SKIP_2) | instid1(VALU_DEP_2)
	v_cmp_lt_u32_e32 vcc_lo, 0xffffff, v20
	v_sub_nc_u32_e32 v17, v85, v97
	v_cndmask_b32_e64 v85, 0, 1, vcc_lo
	v_add_co_ci_u32_e32 v17, vcc_lo, 0, v17, vcc_lo
	s_delay_alu instid0(VALU_DEP_2)
	v_lshrrev_b32_e32 v20, v85, v20
; %bb.97:                               ;   in Loop: Header=BB0_85 Depth=2
	s_and_not1_saveexec_b32 s8, s8
; %bb.98:                               ;   in Loop: Header=BB0_85 Depth=2
	s_delay_alu instid0(VALU_DEP_1)
	v_bfe_u32 v17, v20, 23, 1
; %bb.99:                               ;   in Loop: Header=BB0_85 Depth=2
	s_or_b32 exec_lo, exec_lo, s8
	v_lshrrev_b32_e32 v20, 20, v20
	s_delay_alu instid0(VALU_DEP_2) | instskip(SKIP_2) | instid1(VALU_DEP_2)
	v_cmp_gt_i32_e32 vcc_lo, 16, v17
	v_lshrrev_b32_e32 v19, 24, v19
	v_min_i32_e32 v85, 15, v17
	v_dual_cndmask_b32 v20, 7, v20 :: v_dual_and_b32 v19, 0x80, v19
	s_delay_alu instid0(VALU_DEP_2) | instskip(NEXT) | instid1(VALU_DEP_2)
	v_lshlrev_b32_e32 v85, 3, v85
	v_and_b32_e32 v97, 7, v20
	v_or_b32_e32 v17, v17, v20
	s_delay_alu instid0(VALU_DEP_2) | instskip(NEXT) | instid1(VALU_DEP_2)
	v_or3_b32 v19, v85, v19, v97
	v_cmp_ne_u32_e32 vcc_lo, 0, v17
	s_delay_alu instid0(VALU_DEP_2)
	v_cndmask_b32_e32 v17, 0, v19, vcc_lo
.LBB0_100:                              ;   in Loop: Header=BB0_85 Depth=2
	s_or_b32 exec_lo, exec_lo, s19
.LBB0_101:                              ;   in Loop: Header=BB0_85 Depth=2
	s_delay_alu instid0(SALU_CYCLE_1) | instskip(SKIP_3) | instid1(VALU_DEP_1)
	s_or_b32 exec_lo, exec_lo, s18
	v_lshrrev_b16 v19, 8, v84
	s_mov_b32 s8, 0
	s_mov_b32 s19, exec_lo
                                        ; implicit-def: $sgpr18
	v_cmpx_lt_i16_e32 0x7f, v19
	s_xor_b32 s19, exec_lo, s19
	s_cbranch_execnz .LBB0_187
; %bb.102:                              ;   in Loop: Header=BB0_85 Depth=2
	s_or_saveexec_b32 s19, s19
	v_mov_b32_e32 v20, s18
	s_xor_b32 exec_lo, exec_lo, s19
	s_cbranch_execnz .LBB0_190
.LBB0_103:                              ;   in Loop: Header=BB0_85 Depth=2
	s_or_b32 exec_lo, exec_lo, s19
	s_and_saveexec_b32 s18, s8
	s_cbranch_execz .LBB0_105
.LBB0_104:                              ;   in Loop: Header=BB0_85 Depth=2
	v_and_b32_e32 v20, 0xffff, v19
	v_lshlrev_b32_e32 v19, 24, v19
	s_delay_alu instid0(VALU_DEP_2) | instskip(NEXT) | instid1(VALU_DEP_2)
	v_and_b32_e32 v85, 7, v20
	v_and_b32_e32 v19, 0x80000000, v19
	s_delay_alu instid0(VALU_DEP_2) | instskip(NEXT) | instid1(VALU_DEP_1)
	v_clz_i32_u32_e32 v97, v85
	v_min_u32_e32 v97, 32, v97
	s_delay_alu instid0(VALU_DEP_1) | instskip(SKIP_1) | instid1(VALU_DEP_2)
	v_subrev_nc_u32_e32 v134, 28, v97
	v_sub_nc_u32_e32 v97, 29, v97
	v_lshlrev_b32_e32 v134, v134, v20
	v_bfe_u32 v20, v20, 3, 4
	s_delay_alu instid0(VALU_DEP_2) | instskip(NEXT) | instid1(VALU_DEP_2)
	v_and_b32_e32 v134, 7, v134
	v_cmp_eq_u32_e32 vcc_lo, 0, v20
	s_delay_alu instid0(VALU_DEP_2) | instskip(NEXT) | instid1(VALU_DEP_1)
	v_dual_cndmask_b32 v20, v20, v97 :: v_dual_cndmask_b32 v85, v85, v134
	v_lshl_add_u32 v20, v20, 23, 0x3b800000
	s_delay_alu instid0(VALU_DEP_2) | instskip(NEXT) | instid1(VALU_DEP_1)
	v_lshlrev_b32_e32 v85, 20, v85
	v_or3_b32 v20, v19, v20, v85
.LBB0_105:                              ;   in Loop: Header=BB0_85 Depth=2
	s_or_b32 exec_lo, exec_lo, s18
	s_delay_alu instid0(VALU_DEP_1) | instskip(NEXT) | instid1(VALU_DEP_1)
	v_mul_f32_e32 v20, v0, v20
	v_and_b32_e32 v19, 0x7f800000, v20
	s_delay_alu instid0(VALU_DEP_1)
	v_cmp_ne_u32_e32 vcc_lo, 0x7f800000, v19
	v_mov_b32_e32 v19, 0x80
	s_and_saveexec_b32 s18, vcc_lo
	s_cbranch_execz .LBB0_113
; %bb.106:                              ;   in Loop: Header=BB0_85 Depth=2
	v_mov_b32_e32 v19, 0
	s_mov_b32 s19, exec_lo
	v_cmpx_ne_u32_e32 0, v20
	s_cbranch_execz .LBB0_112
; %bb.107:                              ;   in Loop: Header=BB0_85 Depth=2
	v_bfe_u32 v19, v20, 23, 8
	v_and_b32_e32 v85, 0x7fffff, v20
	s_delay_alu instid0(VALU_DEP_2) | instskip(SKIP_1) | instid1(VALU_DEP_3)
	v_sub_nc_u32_e32 v97, 0x78, v19
	v_cmp_gt_u32_e32 vcc_lo, 0x79, v19
	v_or_b32_e32 v134, 0x800000, v85
	s_delay_alu instid0(VALU_DEP_3) | instskip(SKIP_2) | instid1(VALU_DEP_3)
	v_cndmask_b32_e32 v97, 0, v97, vcc_lo
	v_cmp_eq_u32_e32 vcc_lo, 0, v19
	v_add_nc_u32_e32 v19, 0xffffff89, v19
	v_cndmask_b32_e64 v97, v97, 0x77, vcc_lo
	v_cndmask_b32_e32 v85, v134, v85, vcc_lo
	s_delay_alu instid0(VALU_DEP_3) | instskip(NEXT) | instid1(VALU_DEP_3)
	v_cndmask_b32_e64 v19, v19, 0xffffff8a, vcc_lo
	v_lshl_add_u32 v134, 0x100000, v97, -1
	s_delay_alu instid0(VALU_DEP_3) | instskip(SKIP_1) | instid1(VALU_DEP_4)
	v_lshrrev_b32_e32 v135, v97, v85
	v_lshlrev_b32_e64 v145, v97, 0x80000
	v_add_nc_u32_e32 v97, v97, v19
	s_delay_alu instid0(VALU_DEP_4) | instskip(NEXT) | instid1(VALU_DEP_4)
	v_and_b32_e32 v85, v134, v85
	v_bfe_u32 v144, v135, 20, 1
	s_delay_alu instid0(VALU_DEP_2) | instskip(NEXT) | instid1(VALU_DEP_2)
	v_cmp_eq_u32_e64 s8, v85, v145
	v_add_nc_u32_e32 v134, -1, v144
	s_delay_alu instid0(VALU_DEP_1) | instskip(SKIP_2) | instid1(VALU_DEP_2)
	v_cndmask_b32_e64 v85, 0, v134, s8
	v_lshrrev_b32_e32 v134, 23, v135
	s_mov_b32 s8, exec_lo
	v_add_nc_u32_e32 v85, v85, v135
	s_delay_alu instid0(VALU_DEP_2) | instskip(NEXT) | instid1(VALU_DEP_2)
	v_xor_b32_e32 v134, 1, v134
	v_and_b32_e32 v19, 0xfffff, v85
	s_delay_alu instid0(VALU_DEP_1) | instskip(NEXT) | instid1(VALU_DEP_3)
	v_add_nc_u32_e32 v85, v19, v135
                                        ; implicit-def: $vgpr19
	v_cmpx_ne_u32_e64 v97, v134
	s_xor_b32 s8, exec_lo, s8
; %bb.108:                              ;   in Loop: Header=BB0_85 Depth=2
	s_delay_alu instid0(VALU_DEP_2) | instskip(SKIP_2) | instid1(VALU_DEP_2)
	v_cmp_lt_u32_e32 vcc_lo, 0xffffff, v85
	v_sub_nc_u32_e32 v19, v97, v134
	v_cndmask_b32_e64 v97, 0, 1, vcc_lo
	v_add_co_ci_u32_e32 v19, vcc_lo, 0, v19, vcc_lo
	s_delay_alu instid0(VALU_DEP_2)
	v_lshrrev_b32_e32 v85, v97, v85
; %bb.109:                              ;   in Loop: Header=BB0_85 Depth=2
	s_and_not1_saveexec_b32 s8, s8
; %bb.110:                              ;   in Loop: Header=BB0_85 Depth=2
	s_delay_alu instid0(VALU_DEP_1)
	v_bfe_u32 v19, v85, 23, 1
; %bb.111:                              ;   in Loop: Header=BB0_85 Depth=2
	s_or_b32 exec_lo, exec_lo, s8
	v_lshrrev_b32_e32 v85, 20, v85
	s_delay_alu instid0(VALU_DEP_2) | instskip(SKIP_2) | instid1(VALU_DEP_2)
	v_cmp_gt_i32_e32 vcc_lo, 16, v19
	v_lshrrev_b32_e32 v20, 24, v20
	v_min_i32_e32 v97, 15, v19
	v_dual_cndmask_b32 v85, 7, v85 :: v_dual_and_b32 v20, 0x80, v20
	s_delay_alu instid0(VALU_DEP_2) | instskip(NEXT) | instid1(VALU_DEP_2)
	v_lshlrev_b32_e32 v97, 3, v97
	v_or_b32_e32 v19, v19, v85
	s_delay_alu instid0(VALU_DEP_1) | instskip(SKIP_1) | instid1(VALU_DEP_1)
	v_cmp_ne_u32_e32 vcc_lo, 0, v19
	v_and_b32_e32 v134, 7, v85
	v_or3_b32 v20, v97, v20, v134
	s_delay_alu instid0(VALU_DEP_1)
	v_cndmask_b32_e32 v19, 0, v20, vcc_lo
.LBB0_112:                              ;   in Loop: Header=BB0_85 Depth=2
	s_or_b32 exec_lo, exec_lo, s19
.LBB0_113:                              ;   in Loop: Header=BB0_85 Depth=2
	s_delay_alu instid0(SALU_CYCLE_1) | instskip(SKIP_3) | instid1(VALU_DEP_1)
	s_or_b32 exec_lo, exec_lo, s18
	v_lshrrev_b32_e32 v20, 16, v84
	s_mov_b32 s8, 0
	s_mov_b32 s19, exec_lo
                                        ; implicit-def: $sgpr18
	v_and_b32_e32 v97, 0xff, v20
	s_delay_alu instid0(VALU_DEP_1)
	v_cmpx_lt_i16_e32 0x7f, v97
	s_xor_b32 s19, exec_lo, s19
	s_cbranch_execnz .LBB0_191
; %bb.114:                              ;   in Loop: Header=BB0_85 Depth=2
	s_or_saveexec_b32 s19, s19
	v_mov_b32_e32 v85, s18
	s_xor_b32 exec_lo, exec_lo, s19
	s_cbranch_execnz .LBB0_194
.LBB0_115:                              ;   in Loop: Header=BB0_85 Depth=2
	s_or_b32 exec_lo, exec_lo, s19
	s_and_saveexec_b32 s18, s8
	s_cbranch_execz .LBB0_117
.LBB0_116:                              ;   in Loop: Header=BB0_85 Depth=2
	v_bfe_u32 v85, v84, 16, 3
	v_lshlrev_b32_e32 v135, 8, v84
	s_delay_alu instid0(VALU_DEP_2) | instskip(NEXT) | instid1(VALU_DEP_1)
	v_clz_i32_u32_e32 v97, v85
	v_min_u32_e32 v97, 32, v97
	s_delay_alu instid0(VALU_DEP_1) | instskip(SKIP_1) | instid1(VALU_DEP_2)
	v_subrev_nc_u32_e32 v134, 28, v97
	v_sub_nc_u32_e32 v97, 29, v97
	v_lshlrev_b32_e32 v20, v134, v20
	v_bfe_u32 v134, v84, 19, 4
	s_delay_alu instid0(VALU_DEP_1) | instskip(NEXT) | instid1(VALU_DEP_3)
	v_cmp_eq_u32_e32 vcc_lo, 0, v134
	v_dual_cndmask_b32 v97, v134, v97 :: v_dual_and_b32 v20, 7, v20
	s_delay_alu instid0(VALU_DEP_1) | instskip(NEXT) | instid1(VALU_DEP_2)
	v_dual_cndmask_b32 v20, v85, v20 :: v_dual_and_b32 v85, 0x80000000, v135
	v_lshl_add_u32 v97, v97, 23, 0x3b800000
	s_delay_alu instid0(VALU_DEP_2) | instskip(NEXT) | instid1(VALU_DEP_1)
	v_lshlrev_b32_e32 v20, 20, v20
	v_or3_b32 v85, v85, v97, v20
.LBB0_117:                              ;   in Loop: Header=BB0_85 Depth=2
	s_or_b32 exec_lo, exec_lo, s18
	s_delay_alu instid0(VALU_DEP_1) | instskip(NEXT) | instid1(VALU_DEP_1)
	v_mul_f32_e32 v85, v0, v85
	v_and_b32_e32 v20, 0x7f800000, v85
	s_delay_alu instid0(VALU_DEP_1)
	v_cmp_ne_u32_e32 vcc_lo, 0x7f800000, v20
	v_mov_b32_e32 v20, 0x80
	s_and_saveexec_b32 s18, vcc_lo
	s_cbranch_execz .LBB0_125
; %bb.118:                              ;   in Loop: Header=BB0_85 Depth=2
	v_mov_b32_e32 v20, 0
	s_mov_b32 s19, exec_lo
	v_cmpx_ne_u32_e32 0, v85
	s_cbranch_execz .LBB0_124
; %bb.119:                              ;   in Loop: Header=BB0_85 Depth=2
	v_bfe_u32 v20, v85, 23, 8
	s_delay_alu instid0(VALU_DEP_1) | instskip(SKIP_1) | instid1(VALU_DEP_2)
	v_sub_nc_u32_e32 v134, 0x78, v20
	v_cmp_gt_u32_e32 vcc_lo, 0x79, v20
	v_dual_cndmask_b32 v134, 0, v134 :: v_dual_and_b32 v97, 0x7fffff, v85
	s_delay_alu instid0(VALU_DEP_1) | instskip(SKIP_2) | instid1(VALU_DEP_4)
	v_or_b32_e32 v135, 0x800000, v97
	v_cmp_eq_u32_e32 vcc_lo, 0, v20
	v_add_nc_u32_e32 v20, 0xffffff89, v20
	v_cndmask_b32_e64 v134, v134, 0x77, vcc_lo
	s_delay_alu instid0(VALU_DEP_4) | instskip(NEXT) | instid1(VALU_DEP_3)
	v_cndmask_b32_e32 v97, v135, v97, vcc_lo
	v_cndmask_b32_e64 v20, v20, 0xffffff8a, vcc_lo
	s_delay_alu instid0(VALU_DEP_3) | instskip(NEXT) | instid1(VALU_DEP_3)
	v_lshl_add_u32 v135, 0x100000, v134, -1
	v_lshrrev_b32_e32 v144, v134, v97
	v_lshlrev_b32_e64 v146, v134, 0x80000
	s_delay_alu instid0(VALU_DEP_4) | instskip(NEXT) | instid1(VALU_DEP_4)
	v_add_nc_u32_e32 v134, v134, v20
	v_and_b32_e32 v97, v135, v97
	s_delay_alu instid0(VALU_DEP_4) | instskip(NEXT) | instid1(VALU_DEP_2)
	v_bfe_u32 v145, v144, 20, 1
	v_cmp_eq_u32_e64 s8, v97, v146
	s_delay_alu instid0(VALU_DEP_2) | instskip(NEXT) | instid1(VALU_DEP_1)
	v_add_nc_u32_e32 v135, -1, v145
	v_cndmask_b32_e64 v97, 0, v135, s8
	v_lshrrev_b32_e32 v135, 23, v144
	s_mov_b32 s8, exec_lo
	s_delay_alu instid0(VALU_DEP_2) | instskip(NEXT) | instid1(VALU_DEP_2)
	v_add_nc_u32_e32 v97, v97, v144
	v_xor_b32_e32 v135, 1, v135
	s_delay_alu instid0(VALU_DEP_2) | instskip(NEXT) | instid1(VALU_DEP_1)
	v_and_b32_e32 v20, 0xfffff, v97
	v_add_nc_u32_e32 v97, v20, v144
                                        ; implicit-def: $vgpr20
	s_delay_alu instid0(VALU_DEP_3)
	v_cmpx_ne_u32_e64 v134, v135
	s_xor_b32 s8, exec_lo, s8
; %bb.120:                              ;   in Loop: Header=BB0_85 Depth=2
	s_delay_alu instid0(VALU_DEP_2) | instskip(SKIP_2) | instid1(VALU_DEP_2)
	v_cmp_lt_u32_e32 vcc_lo, 0xffffff, v97
	v_sub_nc_u32_e32 v20, v134, v135
	v_cndmask_b32_e64 v134, 0, 1, vcc_lo
	v_add_co_ci_u32_e32 v20, vcc_lo, 0, v20, vcc_lo
	s_delay_alu instid0(VALU_DEP_2)
	v_lshrrev_b32_e32 v97, v134, v97
; %bb.121:                              ;   in Loop: Header=BB0_85 Depth=2
	s_and_not1_saveexec_b32 s8, s8
; %bb.122:                              ;   in Loop: Header=BB0_85 Depth=2
	s_delay_alu instid0(VALU_DEP_1)
	v_bfe_u32 v20, v97, 23, 1
; %bb.123:                              ;   in Loop: Header=BB0_85 Depth=2
	s_or_b32 exec_lo, exec_lo, s8
	v_lshrrev_b32_e32 v97, 20, v97
	s_delay_alu instid0(VALU_DEP_2) | instskip(SKIP_2) | instid1(VALU_DEP_4)
	v_cmp_gt_i32_e32 vcc_lo, 16, v20
	v_lshrrev_b32_e32 v85, 24, v85
	v_min_i32_e32 v134, 15, v20
	v_cndmask_b32_e32 v97, 7, v97, vcc_lo
	s_delay_alu instid0(VALU_DEP_3) | instskip(NEXT) | instid1(VALU_DEP_3)
	v_and_b32_e32 v85, 0x80, v85
	v_lshlrev_b32_e32 v134, 3, v134
	s_delay_alu instid0(VALU_DEP_3) | instskip(SKIP_1) | instid1(VALU_DEP_2)
	v_and_b32_e32 v135, 7, v97
	v_or_b32_e32 v20, v20, v97
	v_or3_b32 v85, v134, v85, v135
	s_delay_alu instid0(VALU_DEP_2) | instskip(NEXT) | instid1(VALU_DEP_2)
	v_cmp_ne_u32_e32 vcc_lo, 0, v20
	v_cndmask_b32_e32 v20, 0, v85, vcc_lo
.LBB0_124:                              ;   in Loop: Header=BB0_85 Depth=2
	s_or_b32 exec_lo, exec_lo, s19
.LBB0_125:                              ;   in Loop: Header=BB0_85 Depth=2
	s_delay_alu instid0(SALU_CYCLE_1) | instskip(SKIP_3) | instid1(VALU_DEP_1)
	s_or_b32 exec_lo, exec_lo, s18
	v_lshrrev_b32_e32 v85, 24, v84
	s_mov_b32 s8, 0
	s_mov_b32 s19, exec_lo
                                        ; implicit-def: $sgpr18
	v_cmpx_lt_i16_e32 0x7f, v85
	s_xor_b32 s19, exec_lo, s19
	s_cbranch_execnz .LBB0_195
; %bb.126:                              ;   in Loop: Header=BB0_85 Depth=2
	s_or_saveexec_b32 s19, s19
	v_mov_b32_e32 v97, s18
	s_xor_b32 exec_lo, exec_lo, s19
	s_cbranch_execnz .LBB0_198
.LBB0_127:                              ;   in Loop: Header=BB0_85 Depth=2
	s_or_b32 exec_lo, exec_lo, s19
	s_and_saveexec_b32 s18, s8
	s_cbranch_execz .LBB0_129
.LBB0_128:                              ;   in Loop: Header=BB0_85 Depth=2
	v_bfe_u32 v97, v84, 24, 3
	s_delay_alu instid0(VALU_DEP_1) | instskip(NEXT) | instid1(VALU_DEP_1)
	v_clz_i32_u32_e32 v134, v97
	v_min_u32_e32 v134, 32, v134
	s_delay_alu instid0(VALU_DEP_1) | instskip(SKIP_1) | instid1(VALU_DEP_2)
	v_subrev_nc_u32_e32 v135, 28, v134
	v_sub_nc_u32_e32 v134, 29, v134
	v_lshlrev_b32_e32 v85, v135, v85
	v_bfe_u32 v135, v84, 27, 4
	v_and_b32_e32 v84, 0x80000000, v84
	s_delay_alu instid0(VALU_DEP_2) | instskip(NEXT) | instid1(VALU_DEP_4)
	v_cmp_eq_u32_e32 vcc_lo, 0, v135
	v_dual_cndmask_b32 v134, v135, v134 :: v_dual_and_b32 v85, 7, v85
	s_delay_alu instid0(VALU_DEP_1) | instskip(NEXT) | instid1(VALU_DEP_2)
	v_cndmask_b32_e32 v85, v97, v85, vcc_lo
	v_lshl_add_u32 v97, v134, 23, 0x3b800000
	s_delay_alu instid0(VALU_DEP_2) | instskip(NEXT) | instid1(VALU_DEP_1)
	v_lshlrev_b32_e32 v85, 20, v85
	v_or3_b32 v97, v84, v97, v85
.LBB0_129:                              ;   in Loop: Header=BB0_85 Depth=2
	s_or_b32 exec_lo, exec_lo, s18
	s_delay_alu instid0(VALU_DEP_1) | instskip(NEXT) | instid1(VALU_DEP_1)
	v_mul_f32_e32 v85, v0, v97
	v_and_b32_e32 v84, 0x7f800000, v85
	s_delay_alu instid0(VALU_DEP_1)
	v_cmp_ne_u32_e32 vcc_lo, 0x7f800000, v84
	v_mov_b32_e32 v84, 0x80
	s_and_saveexec_b32 s18, vcc_lo
	s_cbranch_execz .LBB0_137
; %bb.130:                              ;   in Loop: Header=BB0_85 Depth=2
	v_mov_b32_e32 v84, 0
	s_mov_b32 s19, exec_lo
	v_cmpx_ne_u32_e32 0, v85
	s_cbranch_execz .LBB0_136
; %bb.131:                              ;   in Loop: Header=BB0_85 Depth=2
	v_bfe_u32 v84, v85, 23, 8
	s_delay_alu instid0(VALU_DEP_1) | instskip(SKIP_1) | instid1(VALU_DEP_2)
	v_sub_nc_u32_e32 v134, 0x78, v84
	v_cmp_gt_u32_e32 vcc_lo, 0x79, v84
	v_dual_cndmask_b32 v134, 0, v134 :: v_dual_and_b32 v97, 0x7fffff, v85
	s_delay_alu instid0(VALU_DEP_1) | instskip(SKIP_2) | instid1(VALU_DEP_4)
	v_or_b32_e32 v135, 0x800000, v97
	v_cmp_eq_u32_e32 vcc_lo, 0, v84
	v_add_nc_u32_e32 v84, 0xffffff89, v84
	v_cndmask_b32_e64 v134, v134, 0x77, vcc_lo
	s_delay_alu instid0(VALU_DEP_4) | instskip(NEXT) | instid1(VALU_DEP_3)
	v_cndmask_b32_e32 v97, v135, v97, vcc_lo
	v_cndmask_b32_e64 v84, v84, 0xffffff8a, vcc_lo
	s_delay_alu instid0(VALU_DEP_3) | instskip(NEXT) | instid1(VALU_DEP_3)
	v_lshl_add_u32 v135, 0x100000, v134, -1
	v_lshrrev_b32_e32 v144, v134, v97
	v_lshlrev_b32_e64 v146, v134, 0x80000
	s_delay_alu instid0(VALU_DEP_4) | instskip(NEXT) | instid1(VALU_DEP_4)
	v_add_nc_u32_e32 v134, v134, v84
	v_and_b32_e32 v97, v135, v97
	s_delay_alu instid0(VALU_DEP_4) | instskip(NEXT) | instid1(VALU_DEP_2)
	v_bfe_u32 v145, v144, 20, 1
	v_cmp_eq_u32_e64 s8, v97, v146
	s_delay_alu instid0(VALU_DEP_2) | instskip(NEXT) | instid1(VALU_DEP_1)
	v_add_nc_u32_e32 v135, -1, v145
	v_cndmask_b32_e64 v97, 0, v135, s8
	v_lshrrev_b32_e32 v135, 23, v144
	s_mov_b32 s8, exec_lo
	s_delay_alu instid0(VALU_DEP_2) | instskip(NEXT) | instid1(VALU_DEP_2)
	v_add_nc_u32_e32 v97, v97, v144
	v_xor_b32_e32 v135, 1, v135
	s_delay_alu instid0(VALU_DEP_2) | instskip(NEXT) | instid1(VALU_DEP_1)
	v_and_b32_e32 v84, 0xfffff, v97
	v_add_nc_u32_e32 v97, v84, v144
                                        ; implicit-def: $vgpr84
	s_delay_alu instid0(VALU_DEP_3)
	v_cmpx_ne_u32_e64 v134, v135
	s_xor_b32 s8, exec_lo, s8
; %bb.132:                              ;   in Loop: Header=BB0_85 Depth=2
	s_delay_alu instid0(VALU_DEP_2) | instskip(SKIP_2) | instid1(VALU_DEP_2)
	v_cmp_lt_u32_e32 vcc_lo, 0xffffff, v97
	v_sub_nc_u32_e32 v84, v134, v135
	v_cndmask_b32_e64 v134, 0, 1, vcc_lo
	v_add_co_ci_u32_e32 v84, vcc_lo, 0, v84, vcc_lo
	s_delay_alu instid0(VALU_DEP_2)
	v_lshrrev_b32_e32 v97, v134, v97
; %bb.133:                              ;   in Loop: Header=BB0_85 Depth=2
	s_and_not1_saveexec_b32 s8, s8
; %bb.134:                              ;   in Loop: Header=BB0_85 Depth=2
	s_delay_alu instid0(VALU_DEP_1)
	v_bfe_u32 v84, v97, 23, 1
; %bb.135:                              ;   in Loop: Header=BB0_85 Depth=2
	s_or_b32 exec_lo, exec_lo, s8
	v_lshrrev_b32_e32 v97, 20, v97
	s_delay_alu instid0(VALU_DEP_2) | instskip(SKIP_2) | instid1(VALU_DEP_4)
	v_cmp_gt_i32_e32 vcc_lo, 16, v84
	v_lshrrev_b32_e32 v85, 24, v85
	v_min_i32_e32 v134, 15, v84
	v_cndmask_b32_e32 v97, 7, v97, vcc_lo
	s_delay_alu instid0(VALU_DEP_3) | instskip(NEXT) | instid1(VALU_DEP_3)
	v_and_b32_e32 v85, 0x80, v85
	v_lshlrev_b32_e32 v134, 3, v134
	s_delay_alu instid0(VALU_DEP_3) | instskip(SKIP_1) | instid1(VALU_DEP_2)
	v_and_b32_e32 v135, 7, v97
	v_or_b32_e32 v84, v84, v97
	v_or3_b32 v85, v134, v85, v135
	s_delay_alu instid0(VALU_DEP_2) | instskip(NEXT) | instid1(VALU_DEP_2)
	v_cmp_ne_u32_e32 vcc_lo, 0, v84
	v_cndmask_b32_e32 v84, 0, v85, vcc_lo
.LBB0_136:                              ;   in Loop: Header=BB0_85 Depth=2
	s_or_b32 exec_lo, exec_lo, s19
.LBB0_137:                              ;   in Loop: Header=BB0_85 Depth=2
	s_delay_alu instid0(SALU_CYCLE_1) | instskip(SKIP_3) | instid1(VALU_DEP_1)
	s_or_b32 exec_lo, exec_lo, s18
	v_alignbit_b32 v85, v87, v96, v86
	s_mov_b32 s8, 0
	s_mov_b32 s19, exec_lo
                                        ; implicit-def: $sgpr18
	v_and_b32_e32 v96, 0xff, v85
	s_delay_alu instid0(VALU_DEP_1)
	v_cmpx_lt_i16_e32 0x7f, v96
	s_xor_b32 s19, exec_lo, s19
	s_cbranch_execnz .LBB0_199
; %bb.138:                              ;   in Loop: Header=BB0_85 Depth=2
	s_or_saveexec_b32 s19, s19
	v_mov_b32_e32 v87, s18
	s_xor_b32 exec_lo, exec_lo, s19
	s_cbranch_execnz .LBB0_202
.LBB0_139:                              ;   in Loop: Header=BB0_85 Depth=2
	s_or_b32 exec_lo, exec_lo, s19
	s_and_saveexec_b32 s18, s8
	s_cbranch_execz .LBB0_141
.LBB0_140:                              ;   in Loop: Header=BB0_85 Depth=2
	v_bfe_u32 v134, v85, 3, 4
	v_lshlrev_b32_e32 v135, 24, v85
	s_delay_alu instid0(VALU_DEP_2) | instskip(SKIP_1) | instid1(VALU_DEP_1)
	v_cmp_eq_u32_e32 vcc_lo, 0, v134
	v_and_b32_e32 v87, 7, v85
	v_clz_i32_u32_e32 v96, v87
	s_delay_alu instid0(VALU_DEP_1) | instskip(NEXT) | instid1(VALU_DEP_1)
	v_min_u32_e32 v96, 32, v96
	v_subrev_nc_u32_e32 v97, 28, v96
	v_sub_nc_u32_e32 v96, 29, v96
	s_delay_alu instid0(VALU_DEP_1) | instskip(NEXT) | instid1(VALU_DEP_1)
	v_dual_cndmask_b32 v96, v134, v96 :: v_dual_lshlrev_b32 v97, v97, v85
	v_and_b32_e32 v97, 7, v97
	s_delay_alu instid0(VALU_DEP_2) | instskip(NEXT) | instid1(VALU_DEP_2)
	v_lshl_add_u32 v96, v96, 23, 0x3b800000
	v_cndmask_b32_e32 v87, v87, v97, vcc_lo
	v_and_b32_e32 v97, 0x80000000, v135
	s_delay_alu instid0(VALU_DEP_2) | instskip(NEXT) | instid1(VALU_DEP_1)
	v_lshlrev_b32_e32 v87, 20, v87
	v_or3_b32 v87, v97, v96, v87
.LBB0_141:                              ;   in Loop: Header=BB0_85 Depth=2
	s_or_b32 exec_lo, exec_lo, s18
	s_delay_alu instid0(VALU_DEP_1) | instskip(NEXT) | instid1(VALU_DEP_1)
	v_mul_f32_e32 v96, v0, v87
	v_and_b32_e32 v87, 0x7f800000, v96
	s_delay_alu instid0(VALU_DEP_1)
	v_cmp_ne_u32_e32 vcc_lo, 0x7f800000, v87
	v_mov_b32_e32 v87, 0x80
	s_and_saveexec_b32 s18, vcc_lo
	s_cbranch_execz .LBB0_149
; %bb.142:                              ;   in Loop: Header=BB0_85 Depth=2
	v_mov_b32_e32 v87, 0
	s_mov_b32 s19, exec_lo
	v_cmpx_ne_u32_e32 0, v96
	s_cbranch_execz .LBB0_148
; %bb.143:                              ;   in Loop: Header=BB0_85 Depth=2
	v_bfe_u32 v87, v96, 23, 8
	s_delay_alu instid0(VALU_DEP_1) | instskip(SKIP_1) | instid1(VALU_DEP_2)
	v_sub_nc_u32_e32 v134, 0x78, v87
	v_cmp_gt_u32_e32 vcc_lo, 0x79, v87
	v_dual_cndmask_b32 v134, 0, v134 :: v_dual_and_b32 v97, 0x7fffff, v96
	s_delay_alu instid0(VALU_DEP_1) | instskip(SKIP_2) | instid1(VALU_DEP_4)
	v_or_b32_e32 v135, 0x800000, v97
	v_cmp_eq_u32_e32 vcc_lo, 0, v87
	v_add_nc_u32_e32 v87, 0xffffff89, v87
	v_cndmask_b32_e64 v134, v134, 0x77, vcc_lo
	s_delay_alu instid0(VALU_DEP_2) | instskip(SKIP_1) | instid1(VALU_DEP_3)
	v_cndmask_b32_e64 v87, v87, 0xffffff8a, vcc_lo
	v_cndmask_b32_e32 v97, v135, v97, vcc_lo
	v_lshl_add_u32 v135, 0x100000, v134, -1
	v_lshlrev_b32_e64 v146, v134, 0x80000
	s_delay_alu instid0(VALU_DEP_3) | instskip(SKIP_1) | instid1(VALU_DEP_4)
	v_lshrrev_b32_e32 v144, v134, v97
	v_add_nc_u32_e32 v134, v134, v87
	v_and_b32_e32 v97, v135, v97
	s_delay_alu instid0(VALU_DEP_3) | instskip(NEXT) | instid1(VALU_DEP_2)
	v_bfe_u32 v145, v144, 20, 1
	v_cmp_eq_u32_e64 s8, v97, v146
	s_delay_alu instid0(VALU_DEP_2) | instskip(NEXT) | instid1(VALU_DEP_1)
	v_add_nc_u32_e32 v135, -1, v145
	v_cndmask_b32_e64 v97, 0, v135, s8
	v_lshrrev_b32_e32 v135, 23, v144
	s_mov_b32 s8, exec_lo
	s_delay_alu instid0(VALU_DEP_2) | instskip(NEXT) | instid1(VALU_DEP_2)
	v_add_nc_u32_e32 v97, v97, v144
	v_xor_b32_e32 v135, 1, v135
	s_delay_alu instid0(VALU_DEP_2) | instskip(NEXT) | instid1(VALU_DEP_1)
	v_and_b32_e32 v87, 0xfffff, v97
	v_add_nc_u32_e32 v97, v87, v144
                                        ; implicit-def: $vgpr87
	s_delay_alu instid0(VALU_DEP_3)
	v_cmpx_ne_u32_e64 v134, v135
	s_xor_b32 s8, exec_lo, s8
; %bb.144:                              ;   in Loop: Header=BB0_85 Depth=2
	s_delay_alu instid0(VALU_DEP_2) | instskip(SKIP_2) | instid1(VALU_DEP_2)
	v_cmp_lt_u32_e32 vcc_lo, 0xffffff, v97
	v_sub_nc_u32_e32 v87, v134, v135
	v_cndmask_b32_e64 v134, 0, 1, vcc_lo
	v_add_co_ci_u32_e32 v87, vcc_lo, 0, v87, vcc_lo
	s_delay_alu instid0(VALU_DEP_2)
	v_lshrrev_b32_e32 v97, v134, v97
; %bb.145:                              ;   in Loop: Header=BB0_85 Depth=2
	s_and_not1_saveexec_b32 s8, s8
; %bb.146:                              ;   in Loop: Header=BB0_85 Depth=2
	s_delay_alu instid0(VALU_DEP_1)
	v_bfe_u32 v87, v97, 23, 1
; %bb.147:                              ;   in Loop: Header=BB0_85 Depth=2
	s_or_b32 exec_lo, exec_lo, s8
	v_lshrrev_b32_e32 v97, 20, v97
	s_delay_alu instid0(VALU_DEP_2) | instskip(SKIP_2) | instid1(VALU_DEP_2)
	v_cmp_gt_i32_e32 vcc_lo, 16, v87
	v_min_i32_e32 v134, 15, v87
	v_lshrrev_b32_e32 v96, 24, v96
	v_dual_cndmask_b32 v97, 7, v97 :: v_dual_lshlrev_b32 v134, 3, v134
	s_delay_alu instid0(VALU_DEP_2) | instskip(NEXT) | instid1(VALU_DEP_2)
	v_and_b32_e32 v96, 0x80, v96
	v_or_b32_e32 v87, v87, v97
	v_and_b32_e32 v135, 7, v97
	s_delay_alu instid0(VALU_DEP_2) | instskip(SKIP_1) | instid1(VALU_DEP_1)
	v_cmp_ne_u32_e32 vcc_lo, 0, v87
	v_and_b32_e32 v134, 0xf8, v134
	v_or3_b32 v96, v134, v96, v135
	s_delay_alu instid0(VALU_DEP_1)
	v_cndmask_b32_e32 v87, 0, v96, vcc_lo
.LBB0_148:                              ;   in Loop: Header=BB0_85 Depth=2
	s_or_b32 exec_lo, exec_lo, s19
.LBB0_149:                              ;   in Loop: Header=BB0_85 Depth=2
	s_delay_alu instid0(SALU_CYCLE_1) | instskip(SKIP_3) | instid1(VALU_DEP_1)
	s_or_b32 exec_lo, exec_lo, s18
	v_lshrrev_b16 v96, 8, v85
	s_mov_b32 s8, 0
	s_mov_b32 s19, exec_lo
                                        ; implicit-def: $sgpr18
	v_cmpx_lt_i16_e32 0x7f, v96
	s_xor_b32 s19, exec_lo, s19
	s_cbranch_execnz .LBB0_203
; %bb.150:                              ;   in Loop: Header=BB0_85 Depth=2
	s_or_saveexec_b32 s19, s19
	v_mov_b32_e32 v97, s18
	s_xor_b32 exec_lo, exec_lo, s19
	s_cbranch_execnz .LBB0_206
.LBB0_151:                              ;   in Loop: Header=BB0_85 Depth=2
	s_or_b32 exec_lo, exec_lo, s19
	s_and_saveexec_b32 s18, s8
	s_cbranch_execz .LBB0_153
.LBB0_152:                              ;   in Loop: Header=BB0_85 Depth=2
	v_and_b32_e32 v97, 0xffff, v96
	v_lshlrev_b32_e32 v96, 24, v96
	s_delay_alu instid0(VALU_DEP_2) | instskip(NEXT) | instid1(VALU_DEP_2)
	v_and_b32_e32 v134, 7, v97
	v_and_b32_e32 v96, 0x80000000, v96
	s_delay_alu instid0(VALU_DEP_2) | instskip(NEXT) | instid1(VALU_DEP_1)
	v_clz_i32_u32_e32 v135, v134
	v_min_u32_e32 v135, 32, v135
	s_delay_alu instid0(VALU_DEP_1) | instskip(SKIP_1) | instid1(VALU_DEP_2)
	v_subrev_nc_u32_e32 v144, 28, v135
	v_sub_nc_u32_e32 v135, 29, v135
	v_lshlrev_b32_e32 v144, v144, v97
	v_bfe_u32 v97, v97, 3, 4
	s_delay_alu instid0(VALU_DEP_2) | instskip(NEXT) | instid1(VALU_DEP_2)
	v_and_b32_e32 v144, 7, v144
	v_cmp_eq_u32_e32 vcc_lo, 0, v97
	s_delay_alu instid0(VALU_DEP_2) | instskip(NEXT) | instid1(VALU_DEP_1)
	v_dual_cndmask_b32 v97, v97, v135 :: v_dual_cndmask_b32 v134, v134, v144
	v_lshl_add_u32 v97, v97, 23, 0x3b800000
	s_delay_alu instid0(VALU_DEP_2) | instskip(NEXT) | instid1(VALU_DEP_1)
	v_lshlrev_b32_e32 v134, 20, v134
	v_or3_b32 v97, v96, v97, v134
.LBB0_153:                              ;   in Loop: Header=BB0_85 Depth=2
	s_or_b32 exec_lo, exec_lo, s18
	s_delay_alu instid0(VALU_DEP_1) | instskip(NEXT) | instid1(VALU_DEP_1)
	v_mul_f32_e32 v97, v0, v97
	v_and_b32_e32 v96, 0x7f800000, v97
	s_delay_alu instid0(VALU_DEP_1)
	v_cmp_ne_u32_e32 vcc_lo, 0x7f800000, v96
	v_mov_b32_e32 v96, 0x8000
	s_and_saveexec_b32 s18, vcc_lo
	s_cbranch_execz .LBB0_161
; %bb.154:                              ;   in Loop: Header=BB0_85 Depth=2
	v_mov_b32_e32 v96, 0
	s_mov_b32 s19, exec_lo
	v_cmpx_ne_u32_e32 0, v97
	s_cbranch_execz .LBB0_160
; %bb.155:                              ;   in Loop: Header=BB0_85 Depth=2
	v_bfe_u32 v96, v97, 23, 8
	s_delay_alu instid0(VALU_DEP_1) | instskip(SKIP_1) | instid1(VALU_DEP_2)
	v_sub_nc_u32_e32 v135, 0x78, v96
	v_cmp_gt_u32_e32 vcc_lo, 0x79, v96
	v_dual_cndmask_b32 v135, 0, v135 :: v_dual_and_b32 v134, 0x7fffff, v97
	s_delay_alu instid0(VALU_DEP_1) | instskip(SKIP_2) | instid1(VALU_DEP_4)
	v_or_b32_e32 v144, 0x800000, v134
	v_cmp_eq_u32_e32 vcc_lo, 0, v96
	v_add_nc_u32_e32 v96, 0xffffff89, v96
	v_cndmask_b32_e64 v135, v135, 0x77, vcc_lo
	s_delay_alu instid0(VALU_DEP_2) | instskip(SKIP_1) | instid1(VALU_DEP_3)
	v_cndmask_b32_e64 v96, v96, 0xffffff8a, vcc_lo
	v_cndmask_b32_e32 v134, v144, v134, vcc_lo
	v_lshl_add_u32 v144, 0x100000, v135, -1
	v_lshlrev_b32_e64 v147, v135, 0x80000
	s_delay_alu instid0(VALU_DEP_3) | instskip(SKIP_1) | instid1(VALU_DEP_4)
	v_lshrrev_b32_e32 v145, v135, v134
	v_add_nc_u32_e32 v135, v135, v96
	v_and_b32_e32 v134, v144, v134
	s_delay_alu instid0(VALU_DEP_3) | instskip(NEXT) | instid1(VALU_DEP_2)
	v_bfe_u32 v146, v145, 20, 1
	v_cmp_eq_u32_e64 s8, v134, v147
	s_delay_alu instid0(VALU_DEP_2) | instskip(NEXT) | instid1(VALU_DEP_1)
	v_add_nc_u32_e32 v144, -1, v146
	v_cndmask_b32_e64 v134, 0, v144, s8
	v_lshrrev_b32_e32 v144, 23, v145
	s_mov_b32 s8, exec_lo
	s_delay_alu instid0(VALU_DEP_2) | instskip(NEXT) | instid1(VALU_DEP_2)
	v_add_nc_u32_e32 v134, v134, v145
	v_xor_b32_e32 v144, 1, v144
	s_delay_alu instid0(VALU_DEP_2) | instskip(NEXT) | instid1(VALU_DEP_1)
	v_and_b32_e32 v96, 0xfffff, v134
	v_add_nc_u32_e32 v134, v96, v145
                                        ; implicit-def: $vgpr96
	s_delay_alu instid0(VALU_DEP_3)
	v_cmpx_ne_u32_e64 v135, v144
	s_xor_b32 s8, exec_lo, s8
; %bb.156:                              ;   in Loop: Header=BB0_85 Depth=2
	s_delay_alu instid0(VALU_DEP_2) | instskip(SKIP_2) | instid1(VALU_DEP_2)
	v_cmp_lt_u32_e32 vcc_lo, 0xffffff, v134
	v_sub_nc_u32_e32 v96, v135, v144
	v_cndmask_b32_e64 v135, 0, 1, vcc_lo
	v_add_co_ci_u32_e32 v96, vcc_lo, 0, v96, vcc_lo
	s_delay_alu instid0(VALU_DEP_2)
	v_lshrrev_b32_e32 v134, v135, v134
; %bb.157:                              ;   in Loop: Header=BB0_85 Depth=2
	s_and_not1_saveexec_b32 s8, s8
; %bb.158:                              ;   in Loop: Header=BB0_85 Depth=2
	s_delay_alu instid0(VALU_DEP_1)
	v_bfe_u32 v96, v134, 23, 1
; %bb.159:                              ;   in Loop: Header=BB0_85 Depth=2
	s_or_b32 exec_lo, exec_lo, s8
	v_lshrrev_b32_e32 v134, 20, v134
	s_delay_alu instid0(VALU_DEP_2) | instskip(SKIP_2) | instid1(VALU_DEP_2)
	v_cmp_gt_i32_e32 vcc_lo, 16, v96
	v_min_i32_e32 v135, 15, v96
	v_lshrrev_b32_e32 v97, 24, v97
	v_dual_cndmask_b32 v134, 7, v134 :: v_dual_lshlrev_b32 v135, 3, v135
	s_delay_alu instid0(VALU_DEP_2) | instskip(NEXT) | instid1(VALU_DEP_2)
	v_and_b32_e32 v97, 0x80, v97
	v_or_b32_e32 v96, v96, v134
	v_and_b32_e32 v144, 7, v134
	s_delay_alu instid0(VALU_DEP_2) | instskip(SKIP_1) | instid1(VALU_DEP_1)
	v_cmp_ne_u32_e32 vcc_lo, 0, v96
	v_and_b32_e32 v135, 0xf8, v135
	v_or3_b32 v97, v97, v135, v144
	s_delay_alu instid0(VALU_DEP_1) | instskip(NEXT) | instid1(VALU_DEP_1)
	v_lshlrev_b32_e32 v97, 8, v97
	v_cndmask_b32_e32 v96, 0, v97, vcc_lo
.LBB0_160:                              ;   in Loop: Header=BB0_85 Depth=2
	s_or_b32 exec_lo, exec_lo, s19
.LBB0_161:                              ;   in Loop: Header=BB0_85 Depth=2
	s_delay_alu instid0(SALU_CYCLE_1) | instskip(SKIP_3) | instid1(VALU_DEP_1)
	s_or_b32 exec_lo, exec_lo, s18
	v_lshrrev_b32_e32 v97, 16, v85
	s_mov_b32 s8, 0
	s_mov_b32 s19, exec_lo
                                        ; implicit-def: $sgpr18
	v_and_b32_e32 v135, 0xff, v97
	s_delay_alu instid0(VALU_DEP_1)
	v_cmpx_lt_i16_e64 0x7f, v135
	s_xor_b32 s19, exec_lo, s19
	s_cbranch_execnz .LBB0_207
; %bb.162:                              ;   in Loop: Header=BB0_85 Depth=2
	s_or_saveexec_b32 s19, s19
	v_mov_b32_e32 v134, s18
	s_xor_b32 exec_lo, exec_lo, s19
	s_cbranch_execnz .LBB0_210
.LBB0_163:                              ;   in Loop: Header=BB0_85 Depth=2
	s_or_b32 exec_lo, exec_lo, s19
	s_and_saveexec_b32 s18, s8
	s_cbranch_execz .LBB0_165
.LBB0_164:                              ;   in Loop: Header=BB0_85 Depth=2
	v_bfe_u32 v134, v85, 16, 3
	v_lshlrev_b32_e32 v145, 8, v85
	s_delay_alu instid0(VALU_DEP_2) | instskip(NEXT) | instid1(VALU_DEP_1)
	v_clz_i32_u32_e32 v135, v134
	v_min_u32_e32 v135, 32, v135
	s_delay_alu instid0(VALU_DEP_1) | instskip(SKIP_1) | instid1(VALU_DEP_2)
	v_subrev_nc_u32_e32 v144, 28, v135
	v_sub_nc_u32_e32 v135, 29, v135
	v_lshlrev_b32_e32 v97, v144, v97
	v_bfe_u32 v144, v85, 19, 4
	s_delay_alu instid0(VALU_DEP_2) | instskip(NEXT) | instid1(VALU_DEP_2)
	v_and_b32_e32 v97, 7, v97
	v_cmp_eq_u32_e32 vcc_lo, 0, v144
	v_cndmask_b32_e32 v135, v144, v135, vcc_lo
	s_delay_alu instid0(VALU_DEP_3) | instskip(SKIP_1) | instid1(VALU_DEP_3)
	v_cndmask_b32_e32 v97, v134, v97, vcc_lo
	v_and_b32_e32 v134, 0x80000000, v145
	v_lshl_add_u32 v135, v135, 23, 0x3b800000
	s_delay_alu instid0(VALU_DEP_3) | instskip(NEXT) | instid1(VALU_DEP_1)
	v_lshlrev_b32_e32 v97, 20, v97
	v_or3_b32 v134, v134, v135, v97
.LBB0_165:                              ;   in Loop: Header=BB0_85 Depth=2
	s_or_b32 exec_lo, exec_lo, s18
	s_delay_alu instid0(VALU_DEP_1) | instskip(NEXT) | instid1(VALU_DEP_1)
	v_mul_f32_e32 v134, v0, v134
	v_and_b32_e32 v97, 0x7f800000, v134
	s_delay_alu instid0(VALU_DEP_1)
	v_cmp_ne_u32_e32 vcc_lo, 0x7f800000, v97
	v_mov_b32_e32 v97, 0x80
	s_and_saveexec_b32 s18, vcc_lo
	s_cbranch_execz .LBB0_173
; %bb.166:                              ;   in Loop: Header=BB0_85 Depth=2
	v_mov_b32_e32 v97, 0
	s_mov_b32 s19, exec_lo
	v_cmpx_ne_u32_e32 0, v134
	s_cbranch_execz .LBB0_172
; %bb.167:                              ;   in Loop: Header=BB0_85 Depth=2
	v_bfe_u32 v97, v134, 23, 8
	s_delay_alu instid0(VALU_DEP_1) | instskip(SKIP_1) | instid1(VALU_DEP_2)
	v_sub_nc_u32_e32 v144, 0x78, v97
	v_cmp_gt_u32_e32 vcc_lo, 0x79, v97
	v_dual_cndmask_b32 v144, 0, v144 :: v_dual_and_b32 v135, 0x7fffff, v134
	s_delay_alu instid0(VALU_DEP_1) | instskip(SKIP_2) | instid1(VALU_DEP_4)
	v_or_b32_e32 v145, 0x800000, v135
	v_cmp_eq_u32_e32 vcc_lo, 0, v97
	v_add_nc_u32_e32 v97, 0xffffff89, v97
	v_cndmask_b32_e64 v144, v144, 0x77, vcc_lo
	s_delay_alu instid0(VALU_DEP_2) | instskip(SKIP_1) | instid1(VALU_DEP_3)
	v_cndmask_b32_e64 v97, v97, 0xffffff8a, vcc_lo
	v_cndmask_b32_e32 v135, v145, v135, vcc_lo
	v_lshl_add_u32 v145, 0x100000, v144, -1
	v_lshlrev_b32_e64 v148, v144, 0x80000
	s_delay_alu instid0(VALU_DEP_3) | instskip(SKIP_1) | instid1(VALU_DEP_4)
	v_lshrrev_b32_e32 v146, v144, v135
	v_add_nc_u32_e32 v144, v144, v97
	v_and_b32_e32 v135, v145, v135
	s_delay_alu instid0(VALU_DEP_3) | instskip(NEXT) | instid1(VALU_DEP_2)
	v_bfe_u32 v147, v146, 20, 1
	v_cmp_eq_u32_e64 s8, v135, v148
	s_delay_alu instid0(VALU_DEP_2) | instskip(NEXT) | instid1(VALU_DEP_1)
	v_add_nc_u32_e32 v145, -1, v147
	v_cndmask_b32_e64 v135, 0, v145, s8
	v_lshrrev_b32_e32 v145, 23, v146
	s_mov_b32 s8, exec_lo
	s_delay_alu instid0(VALU_DEP_2) | instskip(NEXT) | instid1(VALU_DEP_2)
	v_add_nc_u32_e32 v135, v135, v146
	v_xor_b32_e32 v145, 1, v145
	s_delay_alu instid0(VALU_DEP_2) | instskip(NEXT) | instid1(VALU_DEP_1)
	v_and_b32_e32 v97, 0xfffff, v135
	v_add_nc_u32_e32 v135, v97, v146
                                        ; implicit-def: $vgpr97
	s_delay_alu instid0(VALU_DEP_3)
	v_cmpx_ne_u32_e64 v144, v145
	s_xor_b32 s8, exec_lo, s8
; %bb.168:                              ;   in Loop: Header=BB0_85 Depth=2
	s_delay_alu instid0(VALU_DEP_2) | instskip(SKIP_2) | instid1(VALU_DEP_2)
	v_cmp_lt_u32_e32 vcc_lo, 0xffffff, v135
	v_sub_nc_u32_e32 v97, v144, v145
	v_cndmask_b32_e64 v144, 0, 1, vcc_lo
	v_add_co_ci_u32_e32 v97, vcc_lo, 0, v97, vcc_lo
	s_delay_alu instid0(VALU_DEP_2)
	v_lshrrev_b32_e32 v135, v144, v135
; %bb.169:                              ;   in Loop: Header=BB0_85 Depth=2
	s_and_not1_saveexec_b32 s8, s8
; %bb.170:                              ;   in Loop: Header=BB0_85 Depth=2
	s_delay_alu instid0(VALU_DEP_1)
	v_bfe_u32 v97, v135, 23, 1
; %bb.171:                              ;   in Loop: Header=BB0_85 Depth=2
	s_or_b32 exec_lo, exec_lo, s8
	v_lshrrev_b32_e32 v135, 20, v135
	s_delay_alu instid0(VALU_DEP_2) | instskip(SKIP_2) | instid1(VALU_DEP_2)
	v_cmp_gt_i32_e32 vcc_lo, 16, v97
	v_min_i32_e32 v144, 15, v97
	v_lshrrev_b32_e32 v134, 24, v134
	v_dual_cndmask_b32 v135, 7, v135 :: v_dual_lshlrev_b32 v144, 3, v144
	s_delay_alu instid0(VALU_DEP_2) | instskip(NEXT) | instid1(VALU_DEP_2)
	v_and_b32_e32 v134, 0x80, v134
	v_or_b32_e32 v97, v97, v135
	v_and_b32_e32 v145, 7, v135
	s_delay_alu instid0(VALU_DEP_2) | instskip(SKIP_1) | instid1(VALU_DEP_1)
	v_cmp_ne_u32_e32 vcc_lo, 0, v97
	v_and_b32_e32 v144, 0xf8, v144
	v_or3_b32 v134, v144, v134, v145
	s_delay_alu instid0(VALU_DEP_1)
	v_cndmask_b32_e32 v97, 0, v134, vcc_lo
.LBB0_172:                              ;   in Loop: Header=BB0_85 Depth=2
	s_or_b32 exec_lo, exec_lo, s19
.LBB0_173:                              ;   in Loop: Header=BB0_85 Depth=2
	s_delay_alu instid0(SALU_CYCLE_1) | instskip(SKIP_3) | instid1(VALU_DEP_1)
	s_or_b32 exec_lo, exec_lo, s18
	v_lshrrev_b32_e32 v134, 24, v85
	s_mov_b32 s8, 0
	s_mov_b32 s19, exec_lo
                                        ; implicit-def: $sgpr18
	v_cmpx_lt_i16_e64 0x7f, v134
	s_xor_b32 s19, exec_lo, s19
	s_cbranch_execnz .LBB0_211
; %bb.174:                              ;   in Loop: Header=BB0_85 Depth=2
	s_or_saveexec_b32 s19, s19
	v_mov_b32_e32 v135, s18
	s_xor_b32 exec_lo, exec_lo, s19
	s_cbranch_execnz .LBB0_214
.LBB0_175:                              ;   in Loop: Header=BB0_85 Depth=2
	s_or_b32 exec_lo, exec_lo, s19
	s_and_saveexec_b32 s18, s8
	s_cbranch_execz .LBB0_177
.LBB0_176:                              ;   in Loop: Header=BB0_85 Depth=2
	v_bfe_u32 v135, v85, 24, 3
	s_delay_alu instid0(VALU_DEP_1) | instskip(NEXT) | instid1(VALU_DEP_1)
	v_clz_i32_u32_e32 v144, v135
	v_min_u32_e32 v144, 32, v144
	s_delay_alu instid0(VALU_DEP_1) | instskip(SKIP_1) | instid1(VALU_DEP_2)
	v_subrev_nc_u32_e32 v145, 28, v144
	v_sub_nc_u32_e32 v144, 29, v144
	v_lshlrev_b32_e32 v134, v145, v134
	v_bfe_u32 v145, v85, 27, 4
	v_and_b32_e32 v85, 0x80000000, v85
	s_delay_alu instid0(VALU_DEP_3) | instskip(NEXT) | instid1(VALU_DEP_3)
	v_and_b32_e32 v134, 7, v134
	v_cmp_eq_u32_e32 vcc_lo, 0, v145
	v_cndmask_b32_e32 v144, v145, v144, vcc_lo
	s_delay_alu instid0(VALU_DEP_3) | instskip(NEXT) | instid1(VALU_DEP_2)
	v_cndmask_b32_e32 v134, v135, v134, vcc_lo
	v_lshl_add_u32 v135, v144, 23, 0x3b800000
	s_delay_alu instid0(VALU_DEP_2) | instskip(NEXT) | instid1(VALU_DEP_1)
	v_lshlrev_b32_e32 v134, 20, v134
	v_or3_b32 v135, v85, v135, v134
.LBB0_177:                              ;   in Loop: Header=BB0_85 Depth=2
	s_or_b32 exec_lo, exec_lo, s18
	s_delay_alu instid0(VALU_DEP_1) | instskip(NEXT) | instid1(VALU_DEP_1)
	v_mul_f32_e32 v85, v0, v135
	v_and_b32_e32 v134, 0x7f800000, v85
	s_delay_alu instid0(VALU_DEP_1)
	v_cmp_ne_u32_e32 vcc_lo, 0x7f800000, v134
	v_mov_b32_e32 v134, 0x8000
	s_and_saveexec_b32 s18, vcc_lo
	s_cbranch_execz .LBB0_84
; %bb.178:                              ;   in Loop: Header=BB0_85 Depth=2
	v_mov_b32_e32 v134, 0
	s_mov_b32 s19, exec_lo
	v_cmpx_ne_u32_e32 0, v85
	s_cbranch_execz .LBB0_83
; %bb.179:                              ;   in Loop: Header=BB0_85 Depth=2
	v_bfe_u32 v134, v85, 23, 8
	s_delay_alu instid0(VALU_DEP_1) | instskip(SKIP_1) | instid1(VALU_DEP_2)
	v_sub_nc_u32_e32 v144, 0x78, v134
	v_cmp_gt_u32_e32 vcc_lo, 0x79, v134
	v_dual_cndmask_b32 v144, 0, v144 :: v_dual_and_b32 v135, 0x7fffff, v85
	s_delay_alu instid0(VALU_DEP_1) | instskip(SKIP_2) | instid1(VALU_DEP_4)
	v_or_b32_e32 v145, 0x800000, v135
	v_cmp_eq_u32_e32 vcc_lo, 0, v134
	v_add_nc_u32_e32 v134, 0xffffff89, v134
	v_cndmask_b32_e64 v144, v144, 0x77, vcc_lo
	s_delay_alu instid0(VALU_DEP_4) | instskip(NEXT) | instid1(VALU_DEP_3)
	v_cndmask_b32_e32 v135, v145, v135, vcc_lo
	v_cndmask_b32_e64 v134, v134, 0xffffff8a, vcc_lo
	s_delay_alu instid0(VALU_DEP_3) | instskip(NEXT) | instid1(VALU_DEP_3)
	v_lshl_add_u32 v145, 0x100000, v144, -1
	v_lshrrev_b32_e32 v146, v144, v135
	v_lshlrev_b32_e64 v148, v144, 0x80000
	s_delay_alu instid0(VALU_DEP_4) | instskip(NEXT) | instid1(VALU_DEP_4)
	v_add_nc_u32_e32 v144, v144, v134
	v_and_b32_e32 v135, v145, v135
	s_delay_alu instid0(VALU_DEP_4) | instskip(NEXT) | instid1(VALU_DEP_2)
	v_bfe_u32 v147, v146, 20, 1
	v_cmp_eq_u32_e64 s8, v135, v148
	s_delay_alu instid0(VALU_DEP_2) | instskip(NEXT) | instid1(VALU_DEP_1)
	v_add_nc_u32_e32 v145, -1, v147
	v_cndmask_b32_e64 v135, 0, v145, s8
	v_lshrrev_b32_e32 v145, 23, v146
	s_mov_b32 s8, exec_lo
	s_delay_alu instid0(VALU_DEP_2) | instskip(NEXT) | instid1(VALU_DEP_2)
	v_add_nc_u32_e32 v135, v135, v146
	v_xor_b32_e32 v145, 1, v145
	s_delay_alu instid0(VALU_DEP_2) | instskip(NEXT) | instid1(VALU_DEP_1)
	v_and_b32_e32 v134, 0xfffff, v135
	v_add_nc_u32_e32 v135, v134, v146
                                        ; implicit-def: $vgpr134
	s_delay_alu instid0(VALU_DEP_3)
	v_cmpx_ne_u32_e64 v144, v145
	s_xor_b32 s8, exec_lo, s8
; %bb.180:                              ;   in Loop: Header=BB0_85 Depth=2
	s_delay_alu instid0(VALU_DEP_2) | instskip(SKIP_2) | instid1(VALU_DEP_2)
	v_cmp_lt_u32_e32 vcc_lo, 0xffffff, v135
	v_sub_nc_u32_e32 v134, v144, v145
	v_cndmask_b32_e64 v144, 0, 1, vcc_lo
	v_add_co_ci_u32_e32 v134, vcc_lo, 0, v134, vcc_lo
	s_delay_alu instid0(VALU_DEP_2)
	v_lshrrev_b32_e32 v135, v144, v135
; %bb.181:                              ;   in Loop: Header=BB0_85 Depth=2
	s_and_not1_saveexec_b32 s8, s8
	s_cbranch_execz .LBB0_82
; %bb.182:                              ;   in Loop: Header=BB0_85 Depth=2
	s_delay_alu instid0(VALU_DEP_1)
	v_bfe_u32 v134, v135, 23, 1
	s_branch .LBB0_82
.LBB0_183:                              ;   in Loop: Header=BB0_85 Depth=2
	s_mov_b32 s8, -1
	s_mov_b32 s20, exec_lo
                                        ; implicit-def: $sgpr18
	v_cmpx_eq_u16_e32 0x80, v19
; %bb.184:                              ;   in Loop: Header=BB0_85 Depth=2
	s_mov_b32 s18, 0x7f800001
	s_xor_b32 s8, exec_lo, -1
; %bb.185:                              ;   in Loop: Header=BB0_85 Depth=2
	s_or_b32 exec_lo, exec_lo, s20
	s_delay_alu instid0(SALU_CYCLE_1)
	s_and_b32 s8, s8, exec_lo
                                        ; implicit-def: $vgpr19
	s_or_saveexec_b32 s19, s19
	v_mov_b32_e32 v17, s18
	s_xor_b32 exec_lo, exec_lo, s19
	s_cbranch_execz .LBB0_91
.LBB0_186:                              ;   in Loop: Header=BB0_85 Depth=2
	v_cmp_ne_u16_e32 vcc_lo, 0, v19
	v_mov_b32_e32 v17, 0
	s_and_not1_b32 s8, s8, exec_lo
	s_and_b32 s18, vcc_lo, exec_lo
	s_delay_alu instid0(SALU_CYCLE_1)
	s_or_b32 s8, s8, s18
	s_or_b32 exec_lo, exec_lo, s19
	s_and_saveexec_b32 s18, s8
	s_cbranch_execnz .LBB0_92
	s_branch .LBB0_93
.LBB0_187:                              ;   in Loop: Header=BB0_85 Depth=2
	s_mov_b32 s8, -1
	s_mov_b32 s20, exec_lo
                                        ; implicit-def: $sgpr18
	v_cmpx_eq_u16_e32 0x80, v19
; %bb.188:                              ;   in Loop: Header=BB0_85 Depth=2
	s_mov_b32 s18, 0x7f800001
	s_xor_b32 s8, exec_lo, -1
; %bb.189:                              ;   in Loop: Header=BB0_85 Depth=2
	s_or_b32 exec_lo, exec_lo, s20
	s_delay_alu instid0(SALU_CYCLE_1)
	s_and_b32 s8, s8, exec_lo
	s_or_saveexec_b32 s19, s19
	v_mov_b32_e32 v20, s18
	s_xor_b32 exec_lo, exec_lo, s19
	s_cbranch_execz .LBB0_103
.LBB0_190:                              ;   in Loop: Header=BB0_85 Depth=2
	v_cmp_ne_u16_e32 vcc_lo, 0, v19
	v_mov_b32_e32 v20, 0
	s_and_not1_b32 s8, s8, exec_lo
	s_and_b32 s18, vcc_lo, exec_lo
	s_delay_alu instid0(SALU_CYCLE_1)
	s_or_b32 s8, s8, s18
	s_or_b32 exec_lo, exec_lo, s19
	s_and_saveexec_b32 s18, s8
	s_cbranch_execnz .LBB0_104
	s_branch .LBB0_105
.LBB0_191:                              ;   in Loop: Header=BB0_85 Depth=2
	s_mov_b32 s8, -1
	s_mov_b32 s20, exec_lo
                                        ; implicit-def: $sgpr18
	v_cmpx_eq_u16_e32 0x80, v97
; %bb.192:                              ;   in Loop: Header=BB0_85 Depth=2
	s_mov_b32 s18, 0x7f800001
	s_xor_b32 s8, exec_lo, -1
; %bb.193:                              ;   in Loop: Header=BB0_85 Depth=2
	s_or_b32 exec_lo, exec_lo, s20
	s_delay_alu instid0(SALU_CYCLE_1)
	s_and_b32 s8, s8, exec_lo
                                        ; implicit-def: $vgpr97
	s_or_saveexec_b32 s19, s19
	v_mov_b32_e32 v85, s18
	s_xor_b32 exec_lo, exec_lo, s19
	s_cbranch_execz .LBB0_115
.LBB0_194:                              ;   in Loop: Header=BB0_85 Depth=2
	v_cmp_ne_u16_e32 vcc_lo, 0, v97
	v_mov_b32_e32 v85, 0
	s_and_not1_b32 s8, s8, exec_lo
	s_and_b32 s18, vcc_lo, exec_lo
	s_delay_alu instid0(SALU_CYCLE_1)
	s_or_b32 s8, s8, s18
	s_or_b32 exec_lo, exec_lo, s19
	s_and_saveexec_b32 s18, s8
	s_cbranch_execnz .LBB0_116
	s_branch .LBB0_117
.LBB0_195:                              ;   in Loop: Header=BB0_85 Depth=2
	s_mov_b32 s8, -1
	s_mov_b32 s20, exec_lo
                                        ; implicit-def: $sgpr18
	v_cmpx_eq_u16_e32 0x80, v85
; %bb.196:                              ;   in Loop: Header=BB0_85 Depth=2
	s_mov_b32 s18, 0x7f800001
	s_xor_b32 s8, exec_lo, -1
; %bb.197:                              ;   in Loop: Header=BB0_85 Depth=2
	s_or_b32 exec_lo, exec_lo, s20
	s_delay_alu instid0(SALU_CYCLE_1)
	s_and_b32 s8, s8, exec_lo
	s_or_saveexec_b32 s19, s19
	v_mov_b32_e32 v97, s18
	s_xor_b32 exec_lo, exec_lo, s19
	s_cbranch_execz .LBB0_127
.LBB0_198:                              ;   in Loop: Header=BB0_85 Depth=2
	v_cmp_ne_u16_e32 vcc_lo, 0, v85
	v_mov_b32_e32 v97, 0
	s_and_not1_b32 s8, s8, exec_lo
	s_and_b32 s18, vcc_lo, exec_lo
	s_delay_alu instid0(SALU_CYCLE_1)
	s_or_b32 s8, s8, s18
	s_or_b32 exec_lo, exec_lo, s19
	s_and_saveexec_b32 s18, s8
	s_cbranch_execnz .LBB0_128
	s_branch .LBB0_129
.LBB0_199:                              ;   in Loop: Header=BB0_85 Depth=2
	s_mov_b32 s8, -1
	s_mov_b32 s20, exec_lo
                                        ; implicit-def: $sgpr18
	v_cmpx_eq_u16_e32 0x80, v96
; %bb.200:                              ;   in Loop: Header=BB0_85 Depth=2
	s_mov_b32 s18, 0x7f800001
	s_xor_b32 s8, exec_lo, -1
; %bb.201:                              ;   in Loop: Header=BB0_85 Depth=2
	s_or_b32 exec_lo, exec_lo, s20
	s_delay_alu instid0(SALU_CYCLE_1)
	s_and_b32 s8, s8, exec_lo
                                        ; implicit-def: $vgpr96
	s_or_saveexec_b32 s19, s19
	v_mov_b32_e32 v87, s18
	s_xor_b32 exec_lo, exec_lo, s19
	s_cbranch_execz .LBB0_139
.LBB0_202:                              ;   in Loop: Header=BB0_85 Depth=2
	v_cmp_ne_u16_e32 vcc_lo, 0, v96
	v_mov_b32_e32 v87, 0
	s_and_not1_b32 s8, s8, exec_lo
	s_and_b32 s18, vcc_lo, exec_lo
	s_delay_alu instid0(SALU_CYCLE_1)
	s_or_b32 s8, s8, s18
	s_or_b32 exec_lo, exec_lo, s19
	s_and_saveexec_b32 s18, s8
	s_cbranch_execnz .LBB0_140
	s_branch .LBB0_141
.LBB0_203:                              ;   in Loop: Header=BB0_85 Depth=2
	s_mov_b32 s8, -1
	s_mov_b32 s20, exec_lo
                                        ; implicit-def: $sgpr18
	v_cmpx_eq_u16_e32 0x80, v96
; %bb.204:                              ;   in Loop: Header=BB0_85 Depth=2
	s_mov_b32 s18, 0x7f800001
	s_xor_b32 s8, exec_lo, -1
; %bb.205:                              ;   in Loop: Header=BB0_85 Depth=2
	s_or_b32 exec_lo, exec_lo, s20
	s_delay_alu instid0(SALU_CYCLE_1)
	s_and_b32 s8, s8, exec_lo
	s_or_saveexec_b32 s19, s19
	v_mov_b32_e32 v97, s18
	s_xor_b32 exec_lo, exec_lo, s19
	s_cbranch_execz .LBB0_151
.LBB0_206:                              ;   in Loop: Header=BB0_85 Depth=2
	v_cmp_ne_u16_e32 vcc_lo, 0, v96
	v_mov_b32_e32 v97, 0
	s_and_not1_b32 s8, s8, exec_lo
	s_and_b32 s18, vcc_lo, exec_lo
	s_delay_alu instid0(SALU_CYCLE_1)
	s_or_b32 s8, s8, s18
	s_or_b32 exec_lo, exec_lo, s19
	s_and_saveexec_b32 s18, s8
	s_cbranch_execnz .LBB0_152
	s_branch .LBB0_153
.LBB0_207:                              ;   in Loop: Header=BB0_85 Depth=2
	s_mov_b32 s8, -1
	s_mov_b32 s20, exec_lo
                                        ; implicit-def: $sgpr18
	v_cmpx_eq_u16_e64 0x80, v135
; %bb.208:                              ;   in Loop: Header=BB0_85 Depth=2
	s_mov_b32 s18, 0x7f800001
	s_xor_b32 s8, exec_lo, -1
; %bb.209:                              ;   in Loop: Header=BB0_85 Depth=2
	s_or_b32 exec_lo, exec_lo, s20
	s_delay_alu instid0(SALU_CYCLE_1)
	s_and_b32 s8, s8, exec_lo
                                        ; implicit-def: $vgpr135
	s_or_saveexec_b32 s19, s19
	v_mov_b32_e32 v134, s18
	s_xor_b32 exec_lo, exec_lo, s19
	s_cbranch_execz .LBB0_163
.LBB0_210:                              ;   in Loop: Header=BB0_85 Depth=2
	v_cmp_ne_u16_e64 vcc_lo, 0, v135
	v_mov_b32_e32 v134, 0
	s_and_not1_b32 s8, s8, exec_lo
	s_delay_alu instid0(VALU_DEP_2) | instskip(NEXT) | instid1(SALU_CYCLE_1)
	s_and_b32 s18, vcc_lo, exec_lo
	s_or_b32 s8, s8, s18
	s_or_b32 exec_lo, exec_lo, s19
	s_and_saveexec_b32 s18, s8
	s_cbranch_execnz .LBB0_164
	s_branch .LBB0_165
.LBB0_211:                              ;   in Loop: Header=BB0_85 Depth=2
	s_mov_b32 s8, -1
	s_mov_b32 s20, exec_lo
                                        ; implicit-def: $sgpr18
	v_cmpx_eq_u16_e64 0x80, v134
; %bb.212:                              ;   in Loop: Header=BB0_85 Depth=2
	s_mov_b32 s18, 0x7f800001
	s_xor_b32 s8, exec_lo, -1
; %bb.213:                              ;   in Loop: Header=BB0_85 Depth=2
	s_or_b32 exec_lo, exec_lo, s20
	s_delay_alu instid0(SALU_CYCLE_1)
	s_and_b32 s8, s8, exec_lo
	s_or_saveexec_b32 s19, s19
	v_mov_b32_e32 v135, s18
	s_xor_b32 exec_lo, exec_lo, s19
	s_cbranch_execz .LBB0_175
.LBB0_214:                              ;   in Loop: Header=BB0_85 Depth=2
	v_cmp_ne_u16_e64 vcc_lo, 0, v134
	v_mov_b32_e32 v135, 0
	s_and_not1_b32 s8, s8, exec_lo
	s_delay_alu instid0(VALU_DEP_2) | instskip(NEXT) | instid1(SALU_CYCLE_1)
	s_and_b32 s18, vcc_lo, exec_lo
	s_or_b32 s8, s8, s18
	s_or_b32 exec_lo, exec_lo, s19
	s_and_saveexec_b32 s18, s8
	s_cbranch_execnz .LBB0_176
	s_branch .LBB0_177
.LBB0_215:                              ;   in Loop: Header=BB0_40 Depth=1
	s_or_b32 exec_lo, exec_lo, s17
.LBB0_216:                              ;   in Loop: Header=BB0_40 Depth=1
	s_delay_alu instid0(SALU_CYCLE_1) | instskip(SKIP_2) | instid1(VALU_DEP_2)
	s_or_b32 exec_lo, exec_lo, s9
	v_and_b32_e32 v54, 0x7ffffff8, v21
	v_cmp_gt_i32_e64 s8, s14, v70
	v_cmp_eq_u64_e32 vcc_lo, 0x7ffffff8, v[54:55]
	s_delay_alu instid0(VALU_DEP_2) | instskip(NEXT) | instid1(SALU_CYCLE_1)
	s_and_b32 s8, vcc_lo, s8
	s_and_saveexec_b32 s9, s8
	s_cbranch_execz .LBB0_219
; %bb.217:                              ;   in Loop: Header=BB0_40 Depth=1
	v_dual_mov_b32 v54, v21 :: v_dual_and_b32 v17, 7, v21
	v_ashrrev_i32_e32 v71, 31, v70
	s_mov_b32 s17, 0
	s_delay_alu instid0(VALU_DEP_2) | instskip(SKIP_1) | instid1(VALU_DEP_2)
	v_mul_lo_u32 v17, v17, s14
	s_waitcnt vmcnt(0) lgkmcnt(0)
	v_lshlrev_b64 v[19:20], 4, v[70:71]
	s_delay_alu instid0(VALU_DEP_2) | instskip(NEXT) | instid1(VALU_DEP_1)
	v_ashrrev_i32_e32 v18, 31, v17
	v_lshlrev_b64 v[17:18], 4, v[17:18]
	s_delay_alu instid0(VALU_DEP_1) | instskip(NEXT) | instid1(VALU_DEP_2)
	v_add_co_u32 v19, vcc_lo, v19, v17
	v_add_co_ci_u32_e32 v20, vcc_lo, v20, v18, vcc_lo
	v_add_co_u32 v17, vcc_lo, 0, 0
	v_add_co_ci_u32_e32 v18, vcc_lo, 1, v54, vcc_lo
	s_delay_alu instid0(VALU_DEP_4) | instskip(NEXT) | instid1(VALU_DEP_4)
	v_add_co_u32 v80, vcc_lo, v38, v19
	v_add_co_ci_u32_e32 v81, vcc_lo, v39, v20, vcc_lo
.LBB0_218:                              ;   Parent Loop BB0_40 Depth=1
                                        ; =>  This Inner Loop Header: Depth=2
	s_delay_alu instid0(VALU_DEP_4) | instskip(NEXT) | instid1(VALU_DEP_4)
	v_dual_mov_b32 v19, v17 :: v_dual_add_nc_u32 v70, v70, v1
	v_mov_b32_e32 v20, v18
	s_delay_alu instid0(VALU_DEP_2) | instskip(SKIP_2) | instid1(VALU_DEP_1)
	v_cmp_le_i32_e32 vcc_lo, s14, v70
	global_store_b128 v[80:81], v[17:20], off
	v_add_co_u32 v80, s8, v80, v68
	v_add_co_ci_u32_e64 v81, s8, v81, v69, s8
	s_or_b32 s17, vcc_lo, s17
	s_delay_alu instid0(SALU_CYCLE_1)
	s_and_not1_b32 exec_lo, exec_lo, s17
	s_cbranch_execnz .LBB0_218
.LBB0_219:                              ;   in Loop: Header=BB0_40 Depth=1
	s_or_b32 exec_lo, exec_lo, s9
	v_add_co_u32 v134, vcc_lo, v9, v25
	v_add_co_ci_u32_e32 v135, vcc_lo, v10, v26, vcc_lo
	v_add_co_u32 v70, vcc_lo, v21, 1
	v_add_co_ci_u32_e32 v71, vcc_lo, 0, v22, vcc_lo
	s_and_not1_b32 vcc_lo, exec_lo, s16
	s_cbranch_vccnz .LBB0_631
; %bb.220:                              ;   in Loop: Header=BB0_40 Depth=1
	v_add_co_u32 v80, vcc_lo, v115, v134
	v_add_co_ci_u32_e32 v81, vcc_lo, v116, v135, vcc_lo
	v_add_nc_u16 v144, v21, 1
	s_mov_b32 s17, 2
.LBB0_221:                              ;   Parent Loop BB0_40 Depth=1
                                        ; =>  This Loop Header: Depth=2
                                        ;       Child Loop BB0_228 Depth 3
                                        ;       Child Loop BB0_248 Depth 3
	;; [unrolled: 1-line block ×3, first 2 shown]
                                        ;         Child Loop BB0_274 Depth 4
                                        ;       Child Loop BB0_612 Depth 3
                                        ;       Child Loop BB0_629 Depth 3
	s_delay_alu instid0(SALU_CYCLE_1) | instskip(NEXT) | instid1(SALU_CYCLE_1)
	s_sub_i32 s8, s10, s17
	s_ashr_i32 s9, s8, 31
	s_delay_alu instid0(SALU_CYCLE_1) | instskip(NEXT) | instid1(SALU_CYCLE_1)
	s_lshl_b64 s[8:9], s[8:9], 2
	v_add_co_u32 v17, vcc_lo, v23, s8
	v_add_co_ci_u32_e32 v18, vcc_lo, s9, v24, vcc_lo
	s_waitcnt vmcnt(0) lgkmcnt(0)
	flat_load_b32 v19, v[17:18]
	s_and_saveexec_b32 s8, s1
	s_cbranch_execz .LBB0_239
; %bb.222:                              ;   in Loop: Header=BB0_221 Depth=2
	v_add_co_u32 v17, vcc_lo, v15, 1
	v_add_co_ci_u32_e32 v18, vcc_lo, 0, v16, vcc_lo
	v_add_co_u32 v20, vcc_lo, v52, 8
	v_add_co_ci_u32_e32 v21, vcc_lo, 0, v53, vcc_lo
	s_mov_b32 s9, exec_lo
	s_delay_alu instid0(VALU_DEP_1)
	v_cmpx_lt_u64_e64 v[20:21], v[17:18]
	s_cbranch_execz .LBB0_236
; %bb.223:                              ;   in Loop: Header=BB0_221 Depth=2
	s_sleep 1
	flat_load_b64 v[52:53], v[50:51] glc
	v_cmp_eq_u32_e32 vcc_lo, 0, v131
	s_and_saveexec_b32 s18, vcc_lo
	s_cbranch_execz .LBB0_235
; %bb.224:                              ;   in Loop: Header=BB0_221 Depth=2
	v_cndmask_b32_e64 v16, 0, 1, vcc_lo
	s_mov_b32 s19, 0
                                        ; implicit-def: $sgpr20
	s_branch .LBB0_228
.LBB0_225:                              ;   in Loop: Header=BB0_228 Depth=3
	s_or_b32 exec_lo, exec_lo, s23
	s_delay_alu instid0(SALU_CYCLE_1)
	s_or_not1_b32 s23, s24, exec_lo
.LBB0_226:                              ;   in Loop: Header=BB0_228 Depth=3
	s_or_b32 exec_lo, exec_lo, s22
	s_xor_b32 s22, s23, -1
	s_and_not1_b32 s20, s20, exec_lo
	s_and_b32 s22, s22, exec_lo
	s_delay_alu instid0(SALU_CYCLE_1)
	s_or_b32 s20, s20, s22
.LBB0_227:                              ;   in Loop: Header=BB0_228 Depth=3
	s_or_b32 exec_lo, exec_lo, s21
	s_delay_alu instid0(SALU_CYCLE_1) | instskip(NEXT) | instid1(SALU_CYCLE_1)
	s_and_b32 s21, exec_lo, s20
	s_or_b32 s19, s21, s19
	s_delay_alu instid0(SALU_CYCLE_1)
	s_and_not1_b32 exec_lo, exec_lo, s19
	s_cbranch_execz .LBB0_234
.LBB0_228:                              ;   Parent Loop BB0_40 Depth=1
                                        ;     Parent Loop BB0_221 Depth=2
                                        ; =>    This Inner Loop Header: Depth=3
	s_waitcnt vmcnt(0) lgkmcnt(0)
	v_add_co_u32 v20, vcc_lo, v52, 8
	v_add_co_ci_u32_e32 v21, vcc_lo, 0, v53, vcc_lo
	v_mov_b32_e32 v131, 0
	s_or_b32 s20, s20, exec_lo
	s_mov_b32 s21, exec_lo
	s_delay_alu instid0(VALU_DEP_2)
	v_cmpx_lt_u64_e64 v[20:21], v[17:18]
	s_cbranch_execz .LBB0_227
; %bb.229:                              ;   in Loop: Header=BB0_228 Depth=3
	s_sleep 1
	flat_load_b64 v[52:53], v[50:51] glc
	v_dual_mov_b32 v131, 0 :: v_dual_add_nc_u32 v16, 1, v16
	s_mov_b32 s23, -1
	s_mov_b32 s22, exec_lo
	s_delay_alu instid0(VALU_DEP_1)
	v_cmpx_eq_u32_e32 0x2710, v16
	s_cbranch_execz .LBB0_226
; %bb.230:                              ;   in Loop: Header=BB0_228 Depth=3
	s_cbranch_execnz .LBB0_1037
; %bb.231:                              ;   in Loop: Header=BB0_228 Depth=3
	ds_load_b64 v[20:21], v0
	v_dual_mov_b32 v16, 0 :: v_dual_mov_b32 v131, 0
	s_mov_b32 s24, -1
	s_mov_b32 s23, exec_lo
	s_waitcnt vmcnt(0) lgkmcnt(0)
	s_waitcnt_vscnt null, 0x0
	flat_load_b32 v20, v[20:21] glc
	s_waitcnt vmcnt(0) lgkmcnt(0)
	buffer_gl1_inv
	buffer_gl0_inv
	v_cmpx_ne_u32_e32 0, v20
	s_cbranch_execz .LBB0_225
; %bb.232:                              ;   in Loop: Header=BB0_228 Depth=3
	ds_store_b32 v0, v20
	s_cbranch_execnz .LBB0_1064
; %bb.233:                              ;   in Loop: Header=BB0_228 Depth=3
	v_mov_b32_e32 v131, 1
	s_xor_b32 s24, exec_lo, -1
	s_branch .LBB0_225
.LBB0_234:                              ;   in Loop: Header=BB0_221 Depth=2
	s_or_b32 exec_lo, exec_lo, s19
.LBB0_235:                              ;   in Loop: Header=BB0_221 Depth=2
	s_delay_alu instid0(SALU_CYCLE_1)
	s_or_b32 exec_lo, exec_lo, s18
.LBB0_236:                              ;   in Loop: Header=BB0_221 Depth=2
	s_delay_alu instid0(SALU_CYCLE_1)
	s_or_b32 exec_lo, exec_lo, s9
	s_and_saveexec_b32 s9, s2
	s_cbranch_execz .LBB0_238
; %bb.237:                              ;   in Loop: Header=BB0_221 Depth=2
	v_and_b32_e32 v54, 0x7ffffff8, v15
	v_and_b32_e32 v16, 7, v15
	s_delay_alu instid0(VALU_DEP_2) | instskip(NEXT) | instid1(VALU_DEP_2)
	v_cmp_eq_u64_e32 vcc_lo, 0x7ffffff8, v[54:55]
	v_mad_u64_u32 v[20:21], null, v16, 24, v[13:14]
	v_cndmask_b32_e64 v15, v133, s11, vcc_lo
	s_delay_alu instid0(VALU_DEP_1)
	v_ashrrev_i32_e32 v16, 31, v15
	flat_store_b64 v[20:21], v[15:16] offset:8 dlc
	s_waitcnt_vscnt null, 0x0
.LBB0_238:                              ;   in Loop: Header=BB0_221 Depth=2
	s_or_b32 exec_lo, exec_lo, s9
	v_dual_mov_b32 v15, v17 :: v_dual_mov_b32 v16, v18
.LBB0_239:                              ;   in Loop: Header=BB0_221 Depth=2
	s_or_b32 exec_lo, exec_lo, s8
	s_and_saveexec_b32 s8, s3
	s_cbranch_execz .LBB0_261
; %bb.240:                              ;   in Loop: Header=BB0_221 Depth=2
	s_and_saveexec_b32 s9, s4
	s_delay_alu instid0(SALU_CYCLE_1)
	s_xor_b32 s9, exec_lo, s9
	s_cbranch_execz .LBB0_258
; %bb.241:                              ;   in Loop: Header=BB0_221 Depth=2
	s_and_saveexec_b32 s18, s5
	s_cbranch_execz .LBB0_257
; %bb.242:                              ;   in Loop: Header=BB0_221 Depth=2
	s_mov_b32 s20, exec_lo
	s_mov_b32 s19, exec_lo
	v_mbcnt_lo_u32_b32 v17, s20, 0
	s_waitcnt vmcnt(0) lgkmcnt(0)
	s_waitcnt_vscnt null, 0x0
	buffer_gl1_inv
	buffer_gl0_inv
	v_cmpx_eq_u32_e32 0, v17
	s_cbranch_execz .LBB0_244
; %bb.243:                              ;   in Loop: Header=BB0_221 Depth=2
	s_bcnt1_i32_b32 s20, s20
	s_delay_alu instid0(SALU_CYCLE_1)
	v_mov_b32_e32 v54, s20
	ds_add_u64 v0, v[54:55]
	s_cbranch_execnz .LBB0_1062
.LBB0_244:                              ;   in Loop: Header=BB0_221 Depth=2
	s_or_b32 exec_lo, exec_lo, s19
	s_cbranch_execnz .LBB0_1056
; %bb.245:                              ;   in Loop: Header=BB0_221 Depth=2
	ds_load_b64 v[17:18], v0
	v_add_co_u32 v2, vcc_lo, v2, v101
	v_add_co_ci_u32_e32 v3, vcc_lo, v3, v112, vcc_lo
	s_mov_b32 s19, exec_lo
	s_waitcnt lgkmcnt(0)
	s_delay_alu instid0(VALU_DEP_1)
	v_cmpx_lt_u64_e64 v[17:18], v[2:3]
	s_cbranch_execz .LBB0_256
; %bb.246:                              ;   in Loop: Header=BB0_221 Depth=2
	s_mov_b32 s20, 0
	s_mov_b32 s23, 0
                                        ; implicit-def: $sgpr21
                                        ; implicit-def: $sgpr22
	s_branch .LBB0_248
.LBB0_247:                              ;   in Loop: Header=BB0_248 Depth=3
	s_or_b32 exec_lo, exec_lo, s26
	s_delay_alu instid0(SALU_CYCLE_1) | instskip(NEXT) | instid1(SALU_CYCLE_1)
	s_and_b32 s24, exec_lo, s25
	s_or_b32 s20, s24, s20
	s_and_not1_b32 s21, s21, exec_lo
	s_and_b32 s24, s22, exec_lo
	s_delay_alu instid0(SALU_CYCLE_1)
	s_or_b32 s21, s21, s24
	s_and_not1_b32 exec_lo, exec_lo, s20
	s_cbranch_execz .LBB0_254
.LBB0_248:                              ;   Parent Loop BB0_40 Depth=1
                                        ;     Parent Loop BB0_221 Depth=2
                                        ; =>    This Inner Loop Header: Depth=3
	s_add_i32 s23, s23, 1
                                        ; implicit-def: $sgpr25
	s_delay_alu instid0(SALU_CYCLE_1) | instskip(SKIP_1) | instid1(SALU_CYCLE_1)
	s_cmpk_lg_i32 s23, 0x2710
	s_cselect_b32 s24, -1, 0
	s_and_b32 vcc_lo, exec_lo, s24
	s_cbranch_vccz .LBB0_252
.LBB0_249:                              ;   in Loop: Header=BB0_248 Depth=3
	s_and_not1_b32 s22, s22, exec_lo
	s_and_b32 s26, s25, exec_lo
	s_mov_b32 s25, -1
	s_or_b32 s22, s22, s26
	s_and_saveexec_b32 s26, s24
	s_cbranch_execz .LBB0_247
; %bb.250:                              ;   in Loop: Header=BB0_248 Depth=3
	s_sleep 1
	s_cbranch_execnz .LBB0_1080
; %bb.251:                              ;   in Loop: Header=BB0_248 Depth=3
	ds_load_b64 v[17:18], v0
	s_and_not1_b32 s22, s22, exec_lo
	s_waitcnt lgkmcnt(0)
	v_cmp_ge_u64_e32 vcc_lo, v[17:18], v[2:3]
	s_or_not1_b32 s25, vcc_lo, exec_lo
	s_branch .LBB0_247
.LBB0_252:                              ;   in Loop: Header=BB0_248 Depth=3
	s_cbranch_execnz .LBB0_1084
; %bb.253:                              ;   in Loop: Header=BB0_248 Depth=3
	ds_load_b64 v[17:18], v0
	s_and_not1_b32 s24, s24, exec_lo
	s_mov_b32 s23, 0
	s_mov_b32 s25, -1
	s_waitcnt lgkmcnt(0)
	flat_load_b32 v17, v[17:18] glc
	s_waitcnt vmcnt(0) lgkmcnt(0)
	buffer_gl1_inv
	buffer_gl0_inv
	v_cmp_eq_u32_e32 vcc_lo, 0, v17
	s_and_b32 s26, vcc_lo, exec_lo
	s_delay_alu instid0(SALU_CYCLE_1)
	s_or_b32 s24, s24, s26
	s_branch .LBB0_249
.LBB0_254:                              ;   in Loop: Header=BB0_221 Depth=2
	s_or_b32 exec_lo, exec_lo, s20
	s_and_saveexec_b32 s20, s21
	s_delay_alu instid0(SALU_CYCLE_1)
	s_xor_b32 s20, exec_lo, s20
	s_cbranch_execz .LBB0_256
; %bb.255:                              ;   in Loop: Header=BB0_221 Depth=2
	ds_store_b32 v0, v130
	s_cbranch_execnz .LBB0_1105
.LBB0_256:                              ;   in Loop: Header=BB0_221 Depth=2
	s_or_b32 exec_lo, exec_lo, s19
	;;#ASMSTART
	s_wakeup
	;;#ASMEND
.LBB0_257:                              ;   in Loop: Header=BB0_221 Depth=2
	s_or_b32 exec_lo, exec_lo, s18
.LBB0_258:                              ;   in Loop: Header=BB0_221 Depth=2
	s_and_not1_saveexec_b32 s9, s9
	s_cbranch_execz .LBB0_260
; %bb.259:                              ;   in Loop: Header=BB0_221 Depth=2
	s_waitcnt vmcnt(0) lgkmcnt(0)
	s_waitcnt_vscnt null, 0x0
	buffer_gl1_inv
	buffer_gl0_inv
	s_barrier
.LBB0_260:                              ;   in Loop: Header=BB0_221 Depth=2
	s_or_b32 exec_lo, exec_lo, s9
.LBB0_261:                              ;   in Loop: Header=BB0_221 Depth=2
	s_delay_alu instid0(SALU_CYCLE_1)
	s_or_b32 exec_lo, exec_lo, s8
	v_mov_b32_e32 v82, v4
	s_and_saveexec_b32 s18, s7
	s_cbranch_execz .LBB0_603
; %bb.262:                              ;   in Loop: Header=BB0_221 Depth=2
	v_dual_mov_b32 v82, v70 :: v_dual_and_b32 v17, 7, v32
	v_and_b32_e32 v18, 7, v70
	s_waitcnt vmcnt(0) lgkmcnt(0)
	v_ashrrev_i32_e32 v21, 31, v19
	v_mad_u64_u32 v[84:85], null, v99, v19, v[80:81]
	v_mul_lo_u32 v17, v17, s14
	v_mul_lo_u32 v20, v18, s14
	;; [unrolled: 1-line block ×4, first 2 shown]
	v_add_nc_u32_e32 v54, 1, v32
	v_mov_b32_e32 v150, v132
	s_mov_b32 s19, 0
	v_ashrrev_i32_e32 v18, 31, v17
	v_ashrrev_i32_e32 v21, 31, v20
	v_add3_u32 v85, v19, v85, v22
	s_delay_alu instid0(VALU_DEP_3) | instskip(NEXT) | instid1(VALU_DEP_3)
	v_lshlrev_b64 v[17:18], 4, v[17:18]
	v_lshlrev_b64 v[19:20], 4, v[20:21]
	s_delay_alu instid0(VALU_DEP_2) | instskip(NEXT) | instid1(VALU_DEP_3)
	v_add_co_u32 v145, vcc_lo, v29, v17
	v_add_co_ci_u32_e32 v146, vcc_lo, v30, v18, vcc_lo
	s_delay_alu instid0(VALU_DEP_3) | instskip(NEXT) | instid1(VALU_DEP_4)
	v_add_co_u32 v147, vcc_lo, v38, v19
	v_add_co_ci_u32_e32 v148, vcc_lo, v39, v20, vcc_lo
	v_add_co_u32 v149, vcc_lo, 0, 0
	v_add_co_ci_u32_e32 v18, vcc_lo, 1, v82, vcc_lo
	v_mov_b32_e32 v82, v4
	s_branch .LBB0_266
.LBB0_263:                              ;   in Loop: Header=BB0_266 Depth=3
	s_or_b32 exec_lo, exec_lo, s8
	s_delay_alu instid0(VALU_DEP_1) | instskip(NEXT) | instid1(VALU_DEP_2)
	v_lshrrev_b32_e32 v96, 20, v96
	v_cmp_gt_i32_e32 vcc_lo, 16, v83
	v_min_i32_e32 v161, 15, v83
	v_lshrrev_b32_e32 v21, 24, v21
	s_delay_alu instid0(VALU_DEP_2) | instskip(NEXT) | instid1(VALU_DEP_2)
	v_dual_cndmask_b32 v96, 7, v96 :: v_dual_lshlrev_b32 v161, 3, v161
	v_and_b32_e32 v21, 0x80, v21
	s_delay_alu instid0(VALU_DEP_2) | instskip(NEXT) | instid1(VALU_DEP_3)
	v_or_b32_e32 v83, v83, v96
	v_and_b32_e32 v161, 0xf8, v161
	s_delay_alu instid0(VALU_DEP_2) | instskip(SKIP_1) | instid1(VALU_DEP_1)
	v_cmp_ne_u32_e32 vcc_lo, 0, v83
	v_and_b32_e32 v162, 7, v96
	v_or3_b32 v21, v21, v161, v162
	s_delay_alu instid0(VALU_DEP_1) | instskip(NEXT) | instid1(VALU_DEP_1)
	v_lshlrev_b32_e32 v21, 8, v21
	v_cndmask_b32_e32 v83, 0, v21, vcc_lo
.LBB0_264:                              ;   in Loop: Header=BB0_266 Depth=3
	s_or_b32 exec_lo, exec_lo, s20
.LBB0_265:                              ;   in Loop: Header=BB0_266 Depth=3
	s_delay_alu instid0(SALU_CYCLE_1) | instskip(SKIP_4) | instid1(VALU_DEP_4)
	s_or_b32 exec_lo, exec_lo, s9
	v_and_b32_e32 v21, 0xff, v97
	v_lshlrev_b32_e32 v96, 8, v151
	v_or_b32_e32 v20, v83, v20
	v_add_co_u32 v84, vcc_lo, v84, v103
	v_lshlrev_b32_e32 v21, 16, v21
	v_sub_nc_u32_e32 v150, v150, v103
	v_add_co_ci_u32_e32 v85, vcc_lo, v85, v114, vcc_lo
	v_and_or_b32 v83, 0xff, v22, v160
	v_perm_b32 v17, v96, v17, 0xc0c0500
	v_lshl_or_b32 v19, v19, 24, v21
	v_lshlrev_b32_e32 v20, 16, v20
	v_add_co_u32 v21, vcc_lo, v147, v86
	v_add_co_ci_u32_e32 v22, vcc_lo, v148, v87, vcc_lo
	v_cmp_gt_i32_e32 vcc_lo, 1, v150
	v_or3_b32 v17, v19, v17, v149
	v_or3_b32 v19, v83, v20, v149
	v_mov_b32_e32 v20, v18
	v_add_nc_u32_e32 v82, v82, v1
	s_or_b32 s19, vcc_lo, s19
	global_store_b128 v[21:22], v[17:20], off
	s_and_not1_b32 exec_lo, exec_lo, s19
	s_cbranch_execz .LBB0_602
.LBB0_266:                              ;   Parent Loop BB0_40 Depth=1
                                        ;     Parent Loop BB0_221 Depth=2
                                        ; =>    This Loop Header: Depth=3
                                        ;         Child Loop BB0_274 Depth 4
	v_dual_mov_b32 v20, v85 :: v_dual_and_b32 v19, -4, v84
	v_min_u32_e32 v21, 8, v150
	v_dual_mov_b32 v161, 0 :: v_dual_and_b32 v22, 3, v84
	v_mov_b32_e32 v160, 0
	flat_load_b32 v17, v[19:20] glc
	v_add_co_u32 v21, s8, v22, v21
	s_delay_alu instid0(VALU_DEP_1) | instskip(SKIP_1) | instid1(VALU_DEP_1)
	v_add_co_ci_u32_e64 v22, null, 0, 0, s8
	s_mov_b32 s8, exec_lo
	v_cmpx_lt_u64_e32 4, v[21:22]
	s_cbranch_execz .LBB0_268
; %bb.267:                              ;   in Loop: Header=BB0_266 Depth=3
	flat_load_b32 v161, v[19:20] offset:4 glc
.LBB0_268:                              ;   in Loop: Header=BB0_266 Depth=3
	s_or_b32 exec_lo, exec_lo, s8
	s_delay_alu instid0(SALU_CYCLE_1)
	s_mov_b32 s8, exec_lo
	v_cmpx_lt_u64_e32 8, v[21:22]
	s_cbranch_execz .LBB0_270
; %bb.269:                              ;   in Loop: Header=BB0_266 Depth=3
	flat_load_b32 v160, v[19:20] offset:8 glc
.LBB0_270:                              ;   in Loop: Header=BB0_266 Depth=3
	s_or_b32 exec_lo, exec_lo, s8
	v_ashrrev_i32_e32 v83, 31, v82
	s_delay_alu instid0(VALU_DEP_1) | instskip(NEXT) | instid1(VALU_DEP_1)
	v_lshlrev_b64 v[86:87], 4, v[82:83]
	v_add_co_u32 v96, vcc_lo, v145, v86
	s_delay_alu instid0(VALU_DEP_2)
	v_add_co_ci_u32_e32 v97, vcc_lo, v146, v87, vcc_lo
	v_cmp_eq_u32_e32 vcc_lo, 0, v131
	;;#ASMSTART
	global_load_b128 v[19:22], v[96:97], off glc slc dlc
s_waitcnt vmcnt(0)

	;;#ASMEND
	s_and_saveexec_b32 s20, vcc_lo
	s_cbranch_execz .LBB0_284
; %bb.271:                              ;   in Loop: Header=BB0_266 Depth=3
	v_cmp_ne_u32_e64 s8, v54, v20
	v_cmp_ne_u32_e64 s9, v54, v22
	v_mov_b32_e32 v131, 0
	s_delay_alu instid0(VALU_DEP_2) | instskip(NEXT) | instid1(SALU_CYCLE_1)
	s_or_b32 s8, s8, s9
	s_and_saveexec_b32 s9, s8
	s_cbranch_execz .LBB0_283
; %bb.272:                              ;   in Loop: Header=BB0_266 Depth=3
	v_cndmask_b32_e64 v83, 0, 1, vcc_lo
	s_mov_b32 s21, 0
                                        ; implicit-def: $sgpr22
                                        ; implicit-def: $sgpr23
	s_branch .LBB0_274
.LBB0_273:                              ;   in Loop: Header=BB0_274 Depth=4
	s_or_b32 exec_lo, exec_lo, s24
	s_delay_alu instid0(SALU_CYCLE_1) | instskip(NEXT) | instid1(SALU_CYCLE_1)
	s_and_b32 s8, exec_lo, s8
	s_or_b32 s21, s8, s21
	s_and_not1_b32 s8, s22, exec_lo
	s_and_b32 s22, s23, exec_lo
	s_delay_alu instid0(SALU_CYCLE_1)
	s_or_b32 s22, s8, s22
	s_and_not1_b32 exec_lo, exec_lo, s21
	s_cbranch_execz .LBB0_282
.LBB0_274:                              ;   Parent Loop BB0_40 Depth=1
                                        ;     Parent Loop BB0_221 Depth=2
                                        ;       Parent Loop BB0_266 Depth=3
                                        ; =>      This Inner Loop Header: Depth=4
	s_delay_alu instid0(VALU_DEP_1)
	v_add_nc_u32_e32 v83, 1, v83
	v_mov_b32_e32 v131, 0
	s_mov_b32 s8, -1
	s_mov_b32 s25, -1
	s_mov_b32 s24, exec_lo
	;;#ASMSTART
	global_load_b128 v[19:22], v[96:97], off glc slc dlc
s_waitcnt vmcnt(0)

	;;#ASMEND
	v_cmpx_eq_u32_e32 0x2710, v83
	s_cbranch_execz .LBB0_280
; %bb.275:                              ;   in Loop: Header=BB0_274 Depth=4
	s_cbranch_execnz .LBB0_1031
; %bb.276:                              ;   in Loop: Header=BB0_274 Depth=4
	ds_load_b64 v[162:163], v0
	v_mov_b32_e32 v83, 0
	v_mov_b32_e32 v131, 0
	s_mov_b32 s26, -1
	s_mov_b32 s25, exec_lo
	s_waitcnt vmcnt(0) lgkmcnt(0)
	s_waitcnt_vscnt null, 0x0
	flat_load_b32 v151, v[162:163] glc
	s_waitcnt vmcnt(0) lgkmcnt(0)
	buffer_gl1_inv
	buffer_gl0_inv
	v_cmpx_ne_u32_e32 0, v151
	s_cbranch_execz .LBB0_279
; %bb.277:                              ;   in Loop: Header=BB0_274 Depth=4
	ds_store_b32 v0, v151
	s_cbranch_execnz .LBB0_1039
; %bb.278:                              ;   in Loop: Header=BB0_274 Depth=4
	v_mov_b32_e32 v131, 1
	s_xor_b32 s26, exec_lo, -1
.LBB0_279:                              ;   in Loop: Header=BB0_274 Depth=4
	s_or_b32 exec_lo, exec_lo, s25
	s_delay_alu instid0(SALU_CYCLE_1)
	s_or_not1_b32 s25, s26, exec_lo
.LBB0_280:                              ;   in Loop: Header=BB0_274 Depth=4
	s_or_b32 exec_lo, exec_lo, s24
	s_delay_alu instid0(SALU_CYCLE_1)
	s_or_b32 s23, s23, exec_lo
	s_and_saveexec_b32 s24, s25
	s_cbranch_execz .LBB0_273
; %bb.281:                              ;   in Loop: Header=BB0_274 Depth=4
	v_cmp_eq_u32_e32 vcc_lo, v54, v20
	v_cmp_eq_u32_e64 s8, v54, v22
	s_and_not1_b32 s23, s23, exec_lo
	s_delay_alu instid0(VALU_DEP_1) | instskip(NEXT) | instid1(SALU_CYCLE_1)
	s_and_b32 s8, vcc_lo, s8
	s_or_not1_b32 s8, s8, exec_lo
	s_branch .LBB0_273
.LBB0_282:                              ;   in Loop: Header=BB0_266 Depth=3
	s_or_b32 exec_lo, exec_lo, s21
	s_xor_b32 s8, s22, -1
	s_delay_alu instid0(SALU_CYCLE_1) | instskip(NEXT) | instid1(SALU_CYCLE_1)
	s_and_saveexec_b32 s21, s8
	s_xor_b32 s8, exec_lo, s21
	s_delay_alu instid0(SALU_CYCLE_1) | instskip(NEXT) | instid1(SALU_CYCLE_1)
	s_and_not1_saveexec_b32 s8, s8
	s_or_b32 exec_lo, exec_lo, s8
.LBB0_283:                              ;   in Loop: Header=BB0_266 Depth=3
	s_delay_alu instid0(SALU_CYCLE_1)
	s_or_b32 exec_lo, exec_lo, s9
.LBB0_284:                              ;   in Loop: Header=BB0_266 Depth=3
	s_delay_alu instid0(SALU_CYCLE_1) | instskip(SKIP_4) | instid1(VALU_DEP_1)
	s_or_b32 exec_lo, exec_lo, s20
	v_lshlrev_b32_e32 v20, 3, v84
	s_mov_b32 s8, 0
	s_mov_b32 s20, exec_lo
                                        ; implicit-def: $sgpr9
	s_waitcnt vmcnt(0) lgkmcnt(0)
	v_alignbit_b32 v22, v161, v17, v20
	s_delay_alu instid0(VALU_DEP_1) | instskip(NEXT) | instid1(VALU_DEP_1)
	v_and_b32_e32 v83, 0xff, v22
	v_cmpx_lt_i16_e32 0x7f, v83
	s_xor_b32 s20, exec_lo, s20
	s_cbranch_execnz .LBB0_506
; %bb.285:                              ;   in Loop: Header=BB0_266 Depth=3
	s_or_saveexec_b32 s20, s20
	v_mov_b32_e32 v17, s9
	s_xor_b32 exec_lo, exec_lo, s20
	s_cbranch_execnz .LBB0_509
.LBB0_286:                              ;   in Loop: Header=BB0_266 Depth=3
	s_or_b32 exec_lo, exec_lo, s20
	s_and_saveexec_b32 s9, s8
	s_cbranch_execz .LBB0_288
.LBB0_287:                              ;   in Loop: Header=BB0_266 Depth=3
	v_and_b32_e32 v17, 7, v22
	v_bfe_u32 v97, v22, 3, 4
	v_lshlrev_b32_e32 v151, 24, v22
	s_delay_alu instid0(VALU_DEP_3) | instskip(NEXT) | instid1(VALU_DEP_3)
	v_clz_i32_u32_e32 v83, v17
	v_cmp_eq_u32_e32 vcc_lo, 0, v97
	s_delay_alu instid0(VALU_DEP_2) | instskip(NEXT) | instid1(VALU_DEP_1)
	v_min_u32_e32 v83, 32, v83
	v_subrev_nc_u32_e32 v96, 28, v83
	v_sub_nc_u32_e32 v83, 29, v83
	s_delay_alu instid0(VALU_DEP_1) | instskip(NEXT) | instid1(VALU_DEP_1)
	v_dual_cndmask_b32 v83, v97, v83 :: v_dual_lshlrev_b32 v96, v96, v22
	v_and_b32_e32 v96, 7, v96
	s_delay_alu instid0(VALU_DEP_2) | instskip(NEXT) | instid1(VALU_DEP_2)
	v_lshl_add_u32 v83, v83, 23, 0x3b800000
	v_dual_cndmask_b32 v17, v17, v96 :: v_dual_and_b32 v96, 0x80000000, v151
	s_delay_alu instid0(VALU_DEP_1) | instskip(NEXT) | instid1(VALU_DEP_1)
	v_lshlrev_b32_e32 v17, 20, v17
	v_or3_b32 v17, v96, v83, v17
.LBB0_288:                              ;   in Loop: Header=BB0_266 Depth=3
	s_or_b32 exec_lo, exec_lo, s9
	s_delay_alu instid0(VALU_DEP_1) | instskip(NEXT) | instid1(VALU_DEP_1)
	v_mul_f32_e32 v83, v0, v17
	v_and_b32_e32 v17, 0x7f800000, v83
	s_delay_alu instid0(VALU_DEP_1)
	v_cmp_ne_u32_e32 vcc_lo, 0x7f800000, v17
	v_mov_b32_e32 v17, 0x80
	s_and_saveexec_b32 s9, vcc_lo
	s_cbranch_execz .LBB0_296
; %bb.289:                              ;   in Loop: Header=BB0_266 Depth=3
	v_mov_b32_e32 v17, 0
	s_mov_b32 s20, exec_lo
	v_cmpx_ne_u32_e32 0, v83
	s_cbranch_execz .LBB0_295
; %bb.290:                              ;   in Loop: Header=BB0_266 Depth=3
	v_bfe_u32 v17, v83, 23, 8
	s_delay_alu instid0(VALU_DEP_1) | instskip(SKIP_1) | instid1(VALU_DEP_2)
	v_sub_nc_u32_e32 v97, 0x78, v17
	v_cmp_gt_u32_e32 vcc_lo, 0x79, v17
	v_dual_cndmask_b32 v97, 0, v97 :: v_dual_and_b32 v96, 0x7fffff, v83
	s_delay_alu instid0(VALU_DEP_1) | instskip(SKIP_2) | instid1(VALU_DEP_4)
	v_or_b32_e32 v151, 0x800000, v96
	v_cmp_eq_u32_e32 vcc_lo, 0, v17
	v_add_nc_u32_e32 v17, 0xffffff89, v17
	v_cndmask_b32_e64 v97, v97, 0x77, vcc_lo
	s_delay_alu instid0(VALU_DEP_4) | instskip(NEXT) | instid1(VALU_DEP_3)
	v_cndmask_b32_e32 v96, v151, v96, vcc_lo
	v_cndmask_b32_e64 v17, v17, 0xffffff8a, vcc_lo
	s_delay_alu instid0(VALU_DEP_3) | instskip(NEXT) | instid1(VALU_DEP_3)
	v_lshl_add_u32 v151, 0x100000, v97, -1
	v_lshrrev_b32_e32 v162, v97, v96
	v_lshlrev_b32_e64 v164, v97, 0x80000
	s_delay_alu instid0(VALU_DEP_4) | instskip(NEXT) | instid1(VALU_DEP_4)
	v_add_nc_u32_e32 v97, v97, v17
	v_and_b32_e32 v96, v151, v96
	s_delay_alu instid0(VALU_DEP_4) | instskip(NEXT) | instid1(VALU_DEP_2)
	v_bfe_u32 v163, v162, 20, 1
	v_cmp_eq_u32_e64 s8, v96, v164
	s_delay_alu instid0(VALU_DEP_2) | instskip(NEXT) | instid1(VALU_DEP_1)
	v_add_nc_u32_e32 v151, -1, v163
	v_cndmask_b32_e64 v96, 0, v151, s8
	v_lshrrev_b32_e32 v151, 23, v162
	s_mov_b32 s8, exec_lo
	s_delay_alu instid0(VALU_DEP_2) | instskip(NEXT) | instid1(VALU_DEP_2)
	v_add_nc_u32_e32 v96, v96, v162
	v_xor_b32_e32 v151, 1, v151
	s_delay_alu instid0(VALU_DEP_2) | instskip(NEXT) | instid1(VALU_DEP_1)
	v_and_b32_e32 v17, 0xfffff, v96
	v_add_nc_u32_e32 v96, v17, v162
                                        ; implicit-def: $vgpr17
	s_delay_alu instid0(VALU_DEP_3)
	v_cmpx_ne_u32_e64 v97, v151
	s_xor_b32 s8, exec_lo, s8
; %bb.291:                              ;   in Loop: Header=BB0_266 Depth=3
	s_delay_alu instid0(VALU_DEP_2) | instskip(SKIP_2) | instid1(VALU_DEP_2)
	v_cmp_lt_u32_e32 vcc_lo, 0xffffff, v96
	v_sub_nc_u32_e32 v17, v97, v151
	v_cndmask_b32_e64 v97, 0, 1, vcc_lo
	v_add_co_ci_u32_e32 v17, vcc_lo, 0, v17, vcc_lo
	s_delay_alu instid0(VALU_DEP_2)
	v_lshrrev_b32_e32 v96, v97, v96
; %bb.292:                              ;   in Loop: Header=BB0_266 Depth=3
	s_and_not1_saveexec_b32 s8, s8
; %bb.293:                              ;   in Loop: Header=BB0_266 Depth=3
	s_delay_alu instid0(VALU_DEP_1)
	v_bfe_u32 v17, v96, 23, 1
; %bb.294:                              ;   in Loop: Header=BB0_266 Depth=3
	s_or_b32 exec_lo, exec_lo, s8
	v_lshrrev_b32_e32 v96, 20, v96
	s_delay_alu instid0(VALU_DEP_2) | instskip(SKIP_2) | instid1(VALU_DEP_2)
	v_cmp_gt_i32_e32 vcc_lo, 16, v17
	v_lshrrev_b32_e32 v83, 24, v83
	v_min_i32_e32 v97, 15, v17
	v_dual_cndmask_b32 v96, 7, v96 :: v_dual_and_b32 v83, 0x80, v83
	s_delay_alu instid0(VALU_DEP_2) | instskip(NEXT) | instid1(VALU_DEP_2)
	v_lshlrev_b32_e32 v97, 3, v97
	v_and_b32_e32 v151, 7, v96
	v_or_b32_e32 v17, v17, v96
	s_delay_alu instid0(VALU_DEP_2) | instskip(NEXT) | instid1(VALU_DEP_2)
	v_or3_b32 v83, v97, v83, v151
	v_cmp_ne_u32_e32 vcc_lo, 0, v17
	s_delay_alu instid0(VALU_DEP_2)
	v_cndmask_b32_e32 v17, 0, v83, vcc_lo
.LBB0_295:                              ;   in Loop: Header=BB0_266 Depth=3
	s_or_b32 exec_lo, exec_lo, s20
.LBB0_296:                              ;   in Loop: Header=BB0_266 Depth=3
	s_delay_alu instid0(SALU_CYCLE_1) | instskip(SKIP_3) | instid1(VALU_DEP_1)
	s_or_b32 exec_lo, exec_lo, s9
	v_lshrrev_b16 v83, 8, v22
	s_mov_b32 s8, 0
	s_mov_b32 s20, exec_lo
                                        ; implicit-def: $sgpr9
	v_cmpx_lt_i16_e32 0x7f, v83
	s_xor_b32 s20, exec_lo, s20
	s_cbranch_execnz .LBB0_510
; %bb.297:                              ;   in Loop: Header=BB0_266 Depth=3
	s_or_saveexec_b32 s20, s20
	v_mov_b32_e32 v96, s9
	s_xor_b32 exec_lo, exec_lo, s20
	s_cbranch_execnz .LBB0_513
.LBB0_298:                              ;   in Loop: Header=BB0_266 Depth=3
	s_or_b32 exec_lo, exec_lo, s20
	s_and_saveexec_b32 s9, s8
	s_cbranch_execz .LBB0_300
.LBB0_299:                              ;   in Loop: Header=BB0_266 Depth=3
	v_and_b32_e32 v96, 0xffff, v83
	v_lshlrev_b32_e32 v83, 24, v83
	s_delay_alu instid0(VALU_DEP_2) | instskip(NEXT) | instid1(VALU_DEP_2)
	v_and_b32_e32 v97, 7, v96
	v_and_b32_e32 v83, 0x80000000, v83
	s_delay_alu instid0(VALU_DEP_2) | instskip(NEXT) | instid1(VALU_DEP_1)
	v_clz_i32_u32_e32 v151, v97
	v_min_u32_e32 v151, 32, v151
	s_delay_alu instid0(VALU_DEP_1) | instskip(SKIP_1) | instid1(VALU_DEP_2)
	v_subrev_nc_u32_e32 v162, 28, v151
	v_sub_nc_u32_e32 v151, 29, v151
	v_lshlrev_b32_e32 v162, v162, v96
	v_bfe_u32 v96, v96, 3, 4
	s_delay_alu instid0(VALU_DEP_2) | instskip(NEXT) | instid1(VALU_DEP_2)
	v_and_b32_e32 v162, 7, v162
	v_cmp_eq_u32_e32 vcc_lo, 0, v96
	s_delay_alu instid0(VALU_DEP_2) | instskip(NEXT) | instid1(VALU_DEP_1)
	v_dual_cndmask_b32 v96, v96, v151 :: v_dual_cndmask_b32 v97, v97, v162
	v_lshl_add_u32 v96, v96, 23, 0x3b800000
	s_delay_alu instid0(VALU_DEP_2) | instskip(NEXT) | instid1(VALU_DEP_1)
	v_lshlrev_b32_e32 v97, 20, v97
	v_or3_b32 v96, v83, v96, v97
.LBB0_300:                              ;   in Loop: Header=BB0_266 Depth=3
	s_or_b32 exec_lo, exec_lo, s9
	s_delay_alu instid0(VALU_DEP_1) | instskip(SKIP_2) | instid1(VALU_DEP_2)
	v_mul_f32_e32 v83, v0, v96
	v_mov_b32_e32 v151, 0x80
	s_mov_b32 s9, exec_lo
	v_and_b32_e32 v96, 0x7f800000, v83
	s_delay_alu instid0(VALU_DEP_1)
	v_cmpx_ne_u32_e32 0x7f800000, v96
	s_cbranch_execz .LBB0_308
; %bb.301:                              ;   in Loop: Header=BB0_266 Depth=3
	v_mov_b32_e32 v151, 0
	s_mov_b32 s20, exec_lo
	v_cmpx_ne_u32_e32 0, v83
	s_cbranch_execz .LBB0_307
; %bb.302:                              ;   in Loop: Header=BB0_266 Depth=3
	v_bfe_u32 v96, v83, 23, 8
	v_and_b32_e32 v97, 0x7fffff, v83
	s_delay_alu instid0(VALU_DEP_2) | instskip(SKIP_1) | instid1(VALU_DEP_3)
	v_sub_nc_u32_e32 v151, 0x78, v96
	v_cmp_gt_u32_e32 vcc_lo, 0x79, v96
	v_or_b32_e32 v162, 0x800000, v97
	s_delay_alu instid0(VALU_DEP_3) | instskip(SKIP_2) | instid1(VALU_DEP_3)
	v_cndmask_b32_e32 v151, 0, v151, vcc_lo
	v_cmp_eq_u32_e32 vcc_lo, 0, v96
	v_add_nc_u32_e32 v96, 0xffffff89, v96
	v_cndmask_b32_e64 v151, v151, 0x77, vcc_lo
	v_cndmask_b32_e32 v97, v162, v97, vcc_lo
	s_delay_alu instid0(VALU_DEP_3) | instskip(NEXT) | instid1(VALU_DEP_3)
	v_cndmask_b32_e64 v96, v96, 0xffffff8a, vcc_lo
	v_lshl_add_u32 v162, 0x100000, v151, -1
	s_delay_alu instid0(VALU_DEP_3) | instskip(SKIP_1) | instid1(VALU_DEP_4)
	v_lshrrev_b32_e32 v163, v151, v97
	v_lshlrev_b32_e64 v165, v151, 0x80000
	v_add_nc_u32_e32 v151, v151, v96
	s_delay_alu instid0(VALU_DEP_4) | instskip(NEXT) | instid1(VALU_DEP_4)
	v_and_b32_e32 v97, v162, v97
	v_bfe_u32 v164, v163, 20, 1
	s_delay_alu instid0(VALU_DEP_2) | instskip(NEXT) | instid1(VALU_DEP_2)
	v_cmp_eq_u32_e64 s8, v97, v165
	v_add_nc_u32_e32 v162, -1, v164
	s_delay_alu instid0(VALU_DEP_1) | instskip(SKIP_2) | instid1(VALU_DEP_2)
	v_cndmask_b32_e64 v97, 0, v162, s8
	v_lshrrev_b32_e32 v162, 23, v163
	s_mov_b32 s8, exec_lo
	v_add_nc_u32_e32 v97, v97, v163
	s_delay_alu instid0(VALU_DEP_2) | instskip(NEXT) | instid1(VALU_DEP_2)
	v_xor_b32_e32 v162, 1, v162
	v_and_b32_e32 v96, 0xfffff, v97
	s_delay_alu instid0(VALU_DEP_1) | instskip(NEXT) | instid1(VALU_DEP_3)
	v_add_nc_u32_e32 v97, v96, v163
                                        ; implicit-def: $vgpr96
	v_cmpx_ne_u32_e64 v151, v162
	s_xor_b32 s8, exec_lo, s8
; %bb.303:                              ;   in Loop: Header=BB0_266 Depth=3
	s_delay_alu instid0(VALU_DEP_2) | instskip(SKIP_2) | instid1(VALU_DEP_2)
	v_cmp_lt_u32_e32 vcc_lo, 0xffffff, v97
	v_sub_nc_u32_e32 v96, v151, v162
	v_cndmask_b32_e64 v151, 0, 1, vcc_lo
	v_add_co_ci_u32_e32 v96, vcc_lo, 0, v96, vcc_lo
	s_delay_alu instid0(VALU_DEP_2)
	v_lshrrev_b32_e32 v97, v151, v97
; %bb.304:                              ;   in Loop: Header=BB0_266 Depth=3
	s_and_not1_saveexec_b32 s8, s8
; %bb.305:                              ;   in Loop: Header=BB0_266 Depth=3
	s_delay_alu instid0(VALU_DEP_1)
	v_bfe_u32 v96, v97, 23, 1
; %bb.306:                              ;   in Loop: Header=BB0_266 Depth=3
	s_or_b32 exec_lo, exec_lo, s8
	v_lshrrev_b32_e32 v97, 20, v97
	s_delay_alu instid0(VALU_DEP_2) | instskip(SKIP_2) | instid1(VALU_DEP_4)
	v_cmp_gt_i32_e32 vcc_lo, 16, v96
	v_lshrrev_b32_e32 v83, 24, v83
	v_min_i32_e32 v151, 15, v96
	v_cndmask_b32_e32 v97, 7, v97, vcc_lo
	s_delay_alu instid0(VALU_DEP_3) | instskip(NEXT) | instid1(VALU_DEP_3)
	v_and_b32_e32 v83, 0x80, v83
	v_lshlrev_b32_e32 v151, 3, v151
	s_delay_alu instid0(VALU_DEP_3) | instskip(NEXT) | instid1(VALU_DEP_1)
	v_or_b32_e32 v96, v96, v97
	v_cmp_ne_u32_e32 vcc_lo, 0, v96
	v_and_b32_e32 v162, 7, v97
	s_delay_alu instid0(VALU_DEP_1) | instskip(NEXT) | instid1(VALU_DEP_1)
	v_or3_b32 v83, v151, v83, v162
	v_cndmask_b32_e32 v151, 0, v83, vcc_lo
.LBB0_307:                              ;   in Loop: Header=BB0_266 Depth=3
	s_or_b32 exec_lo, exec_lo, s20
.LBB0_308:                              ;   in Loop: Header=BB0_266 Depth=3
	s_delay_alu instid0(SALU_CYCLE_1) | instskip(SKIP_3) | instid1(VALU_DEP_1)
	s_or_b32 exec_lo, exec_lo, s9
	v_lshrrev_b32_e32 v83, 16, v22
	s_mov_b32 s8, 0
	s_mov_b32 s20, exec_lo
                                        ; implicit-def: $sgpr9
	v_and_b32_e32 v97, 0xff, v83
	s_delay_alu instid0(VALU_DEP_1)
	v_cmpx_lt_i16_e32 0x7f, v97
	s_xor_b32 s20, exec_lo, s20
	s_cbranch_execnz .LBB0_514
; %bb.309:                              ;   in Loop: Header=BB0_266 Depth=3
	s_or_saveexec_b32 s20, s20
	v_mov_b32_e32 v96, s9
	s_xor_b32 exec_lo, exec_lo, s20
	s_cbranch_execnz .LBB0_517
.LBB0_310:                              ;   in Loop: Header=BB0_266 Depth=3
	s_or_b32 exec_lo, exec_lo, s20
	s_and_saveexec_b32 s9, s8
	s_cbranch_execz .LBB0_312
.LBB0_311:                              ;   in Loop: Header=BB0_266 Depth=3
	v_bfe_u32 v96, v22, 16, 3
	v_lshlrev_b32_e32 v163, 8, v22
	s_delay_alu instid0(VALU_DEP_2) | instskip(NEXT) | instid1(VALU_DEP_1)
	v_clz_i32_u32_e32 v97, v96
	v_min_u32_e32 v97, 32, v97
	s_delay_alu instid0(VALU_DEP_1) | instskip(SKIP_1) | instid1(VALU_DEP_2)
	v_subrev_nc_u32_e32 v162, 28, v97
	v_sub_nc_u32_e32 v97, 29, v97
	v_lshlrev_b32_e32 v83, v162, v83
	v_bfe_u32 v162, v22, 19, 4
	s_delay_alu instid0(VALU_DEP_2) | instskip(NEXT) | instid1(VALU_DEP_2)
	v_and_b32_e32 v83, 7, v83
	v_cmp_eq_u32_e32 vcc_lo, 0, v162
	v_cndmask_b32_e32 v97, v162, v97, vcc_lo
	s_delay_alu instid0(VALU_DEP_3) | instskip(SKIP_1) | instid1(VALU_DEP_3)
	v_cndmask_b32_e32 v83, v96, v83, vcc_lo
	v_and_b32_e32 v96, 0x80000000, v163
	v_lshl_add_u32 v97, v97, 23, 0x3b800000
	s_delay_alu instid0(VALU_DEP_3) | instskip(NEXT) | instid1(VALU_DEP_1)
	v_lshlrev_b32_e32 v83, 20, v83
	v_or3_b32 v96, v96, v97, v83
.LBB0_312:                              ;   in Loop: Header=BB0_266 Depth=3
	s_or_b32 exec_lo, exec_lo, s9
	s_delay_alu instid0(VALU_DEP_1) | instskip(SKIP_2) | instid1(VALU_DEP_2)
	v_mul_f32_e32 v83, v0, v96
	v_mov_b32_e32 v97, 0x80
	s_mov_b32 s9, exec_lo
	v_and_b32_e32 v96, 0x7f800000, v83
	s_delay_alu instid0(VALU_DEP_1)
	v_cmpx_ne_u32_e32 0x7f800000, v96
	s_cbranch_execz .LBB0_320
; %bb.313:                              ;   in Loop: Header=BB0_266 Depth=3
	v_mov_b32_e32 v97, 0
	s_mov_b32 s20, exec_lo
	v_cmpx_ne_u32_e32 0, v83
	s_cbranch_execz .LBB0_319
; %bb.314:                              ;   in Loop: Header=BB0_266 Depth=3
	v_bfe_u32 v96, v83, 23, 8
	s_delay_alu instid0(VALU_DEP_1) | instskip(SKIP_1) | instid1(VALU_DEP_2)
	v_sub_nc_u32_e32 v162, 0x78, v96
	v_cmp_gt_u32_e32 vcc_lo, 0x79, v96
	v_dual_cndmask_b32 v162, 0, v162 :: v_dual_and_b32 v97, 0x7fffff, v83
	s_delay_alu instid0(VALU_DEP_1) | instskip(SKIP_2) | instid1(VALU_DEP_4)
	v_or_b32_e32 v163, 0x800000, v97
	v_cmp_eq_u32_e32 vcc_lo, 0, v96
	v_add_nc_u32_e32 v96, 0xffffff89, v96
	v_cndmask_b32_e64 v162, v162, 0x77, vcc_lo
	s_delay_alu instid0(VALU_DEP_4) | instskip(NEXT) | instid1(VALU_DEP_3)
	v_cndmask_b32_e32 v97, v163, v97, vcc_lo
	v_cndmask_b32_e64 v96, v96, 0xffffff8a, vcc_lo
	s_delay_alu instid0(VALU_DEP_3) | instskip(NEXT) | instid1(VALU_DEP_3)
	v_lshl_add_u32 v163, 0x100000, v162, -1
	v_lshrrev_b32_e32 v164, v162, v97
	v_lshlrev_b32_e64 v166, v162, 0x80000
	s_delay_alu instid0(VALU_DEP_4) | instskip(NEXT) | instid1(VALU_DEP_4)
	v_add_nc_u32_e32 v162, v162, v96
	v_and_b32_e32 v97, v163, v97
	s_delay_alu instid0(VALU_DEP_4) | instskip(NEXT) | instid1(VALU_DEP_2)
	v_bfe_u32 v165, v164, 20, 1
	v_cmp_eq_u32_e64 s8, v97, v166
	s_delay_alu instid0(VALU_DEP_2) | instskip(NEXT) | instid1(VALU_DEP_1)
	v_add_nc_u32_e32 v163, -1, v165
	v_cndmask_b32_e64 v97, 0, v163, s8
	v_lshrrev_b32_e32 v163, 23, v164
	s_mov_b32 s8, exec_lo
	s_delay_alu instid0(VALU_DEP_2) | instskip(NEXT) | instid1(VALU_DEP_2)
	v_add_nc_u32_e32 v97, v97, v164
	v_xor_b32_e32 v163, 1, v163
	s_delay_alu instid0(VALU_DEP_2) | instskip(NEXT) | instid1(VALU_DEP_1)
	v_and_b32_e32 v96, 0xfffff, v97
	v_add_nc_u32_e32 v97, v96, v164
                                        ; implicit-def: $vgpr96
	s_delay_alu instid0(VALU_DEP_3)
	v_cmpx_ne_u32_e64 v162, v163
	s_xor_b32 s8, exec_lo, s8
; %bb.315:                              ;   in Loop: Header=BB0_266 Depth=3
	s_delay_alu instid0(VALU_DEP_2) | instskip(SKIP_2) | instid1(VALU_DEP_2)
	v_cmp_lt_u32_e32 vcc_lo, 0xffffff, v97
	v_sub_nc_u32_e32 v96, v162, v163
	v_cndmask_b32_e64 v162, 0, 1, vcc_lo
	v_add_co_ci_u32_e32 v96, vcc_lo, 0, v96, vcc_lo
	s_delay_alu instid0(VALU_DEP_2)
	v_lshrrev_b32_e32 v97, v162, v97
; %bb.316:                              ;   in Loop: Header=BB0_266 Depth=3
	s_and_not1_saveexec_b32 s8, s8
; %bb.317:                              ;   in Loop: Header=BB0_266 Depth=3
	s_delay_alu instid0(VALU_DEP_1)
	v_bfe_u32 v96, v97, 23, 1
; %bb.318:                              ;   in Loop: Header=BB0_266 Depth=3
	s_or_b32 exec_lo, exec_lo, s8
	v_lshrrev_b32_e32 v97, 20, v97
	s_delay_alu instid0(VALU_DEP_2) | instskip(SKIP_2) | instid1(VALU_DEP_4)
	v_cmp_gt_i32_e32 vcc_lo, 16, v96
	v_lshrrev_b32_e32 v83, 24, v83
	v_min_i32_e32 v162, 15, v96
	v_cndmask_b32_e32 v97, 7, v97, vcc_lo
	s_delay_alu instid0(VALU_DEP_3) | instskip(NEXT) | instid1(VALU_DEP_3)
	v_and_b32_e32 v83, 0x80, v83
	v_lshlrev_b32_e32 v162, 3, v162
	s_delay_alu instid0(VALU_DEP_3) | instskip(SKIP_1) | instid1(VALU_DEP_2)
	v_and_b32_e32 v163, 7, v97
	v_or_b32_e32 v96, v96, v97
	v_or3_b32 v83, v162, v83, v163
	s_delay_alu instid0(VALU_DEP_2) | instskip(NEXT) | instid1(VALU_DEP_2)
	v_cmp_ne_u32_e32 vcc_lo, 0, v96
	v_cndmask_b32_e32 v97, 0, v83, vcc_lo
.LBB0_319:                              ;   in Loop: Header=BB0_266 Depth=3
	s_or_b32 exec_lo, exec_lo, s20
.LBB0_320:                              ;   in Loop: Header=BB0_266 Depth=3
	s_delay_alu instid0(SALU_CYCLE_1) | instskip(SKIP_3) | instid1(VALU_DEP_1)
	s_or_b32 exec_lo, exec_lo, s9
	v_lshrrev_b32_e32 v83, 24, v22
	s_mov_b32 s8, 0
	s_mov_b32 s20, exec_lo
                                        ; implicit-def: $sgpr9
	v_cmpx_lt_i16_e32 0x7f, v83
	s_xor_b32 s20, exec_lo, s20
	s_cbranch_execnz .LBB0_518
; %bb.321:                              ;   in Loop: Header=BB0_266 Depth=3
	s_or_saveexec_b32 s20, s20
	v_mov_b32_e32 v96, s9
	s_xor_b32 exec_lo, exec_lo, s20
	s_cbranch_execnz .LBB0_521
.LBB0_322:                              ;   in Loop: Header=BB0_266 Depth=3
	s_or_b32 exec_lo, exec_lo, s20
	s_and_saveexec_b32 s9, s8
	s_cbranch_execz .LBB0_324
.LBB0_323:                              ;   in Loop: Header=BB0_266 Depth=3
	v_bfe_u32 v96, v22, 24, 3
	s_delay_alu instid0(VALU_DEP_1) | instskip(NEXT) | instid1(VALU_DEP_1)
	v_clz_i32_u32_e32 v162, v96
	v_min_u32_e32 v162, 32, v162
	s_delay_alu instid0(VALU_DEP_1) | instskip(SKIP_1) | instid1(VALU_DEP_2)
	v_subrev_nc_u32_e32 v163, 28, v162
	v_sub_nc_u32_e32 v162, 29, v162
	v_lshlrev_b32_e32 v83, v163, v83
	v_bfe_u32 v163, v22, 27, 4
	v_and_b32_e32 v22, 0x80000000, v22
	s_delay_alu instid0(VALU_DEP_2) | instskip(NEXT) | instid1(VALU_DEP_4)
	v_cmp_eq_u32_e32 vcc_lo, 0, v163
	v_dual_cndmask_b32 v162, v163, v162 :: v_dual_and_b32 v83, 7, v83
	s_delay_alu instid0(VALU_DEP_1) | instskip(NEXT) | instid1(VALU_DEP_2)
	v_cndmask_b32_e32 v83, v96, v83, vcc_lo
	v_lshl_add_u32 v96, v162, 23, 0x3b800000
	s_delay_alu instid0(VALU_DEP_2) | instskip(NEXT) | instid1(VALU_DEP_1)
	v_lshlrev_b32_e32 v83, 20, v83
	v_or3_b32 v96, v22, v96, v83
.LBB0_324:                              ;   in Loop: Header=BB0_266 Depth=3
	s_or_b32 exec_lo, exec_lo, s9
	s_delay_alu instid0(VALU_DEP_1) | instskip(SKIP_2) | instid1(VALU_DEP_2)
	v_mul_f32_e32 v22, v0, v96
	v_mov_b32_e32 v96, 0x80
	s_mov_b32 s9, exec_lo
	v_and_b32_e32 v83, 0x7f800000, v22
	s_delay_alu instid0(VALU_DEP_1)
	v_cmpx_ne_u32_e32 0x7f800000, v83
	s_cbranch_execz .LBB0_332
; %bb.325:                              ;   in Loop: Header=BB0_266 Depth=3
	v_mov_b32_e32 v96, 0
	s_mov_b32 s20, exec_lo
	v_cmpx_ne_u32_e32 0, v22
	s_cbranch_execz .LBB0_331
; %bb.326:                              ;   in Loop: Header=BB0_266 Depth=3
	v_bfe_u32 v83, v22, 23, 8
	v_and_b32_e32 v96, 0x7fffff, v22
	s_delay_alu instid0(VALU_DEP_2) | instskip(SKIP_1) | instid1(VALU_DEP_3)
	v_sub_nc_u32_e32 v162, 0x78, v83
	v_cmp_gt_u32_e32 vcc_lo, 0x79, v83
	v_or_b32_e32 v163, 0x800000, v96
	s_delay_alu instid0(VALU_DEP_3) | instskip(SKIP_2) | instid1(VALU_DEP_3)
	v_cndmask_b32_e32 v162, 0, v162, vcc_lo
	v_cmp_eq_u32_e32 vcc_lo, 0, v83
	v_add_nc_u32_e32 v83, 0xffffff89, v83
	v_cndmask_b32_e64 v162, v162, 0x77, vcc_lo
	v_cndmask_b32_e32 v96, v163, v96, vcc_lo
	s_delay_alu instid0(VALU_DEP_3) | instskip(NEXT) | instid1(VALU_DEP_3)
	v_cndmask_b32_e64 v83, v83, 0xffffff8a, vcc_lo
	v_lshl_add_u32 v163, 0x100000, v162, -1
	s_delay_alu instid0(VALU_DEP_3) | instskip(SKIP_1) | instid1(VALU_DEP_4)
	v_lshrrev_b32_e32 v164, v162, v96
	v_lshlrev_b32_e64 v166, v162, 0x80000
	v_add_nc_u32_e32 v162, v162, v83
	s_delay_alu instid0(VALU_DEP_4) | instskip(NEXT) | instid1(VALU_DEP_4)
	v_and_b32_e32 v96, v163, v96
	v_bfe_u32 v165, v164, 20, 1
	s_delay_alu instid0(VALU_DEP_2) | instskip(NEXT) | instid1(VALU_DEP_2)
	v_cmp_eq_u32_e64 s8, v96, v166
	v_add_nc_u32_e32 v163, -1, v165
	s_delay_alu instid0(VALU_DEP_1) | instskip(SKIP_2) | instid1(VALU_DEP_2)
	v_cndmask_b32_e64 v96, 0, v163, s8
	v_lshrrev_b32_e32 v163, 23, v164
	s_mov_b32 s8, exec_lo
	v_add_nc_u32_e32 v96, v96, v164
	s_delay_alu instid0(VALU_DEP_2) | instskip(NEXT) | instid1(VALU_DEP_2)
	v_xor_b32_e32 v163, 1, v163
	v_and_b32_e32 v83, 0xfffff, v96
	s_delay_alu instid0(VALU_DEP_1) | instskip(NEXT) | instid1(VALU_DEP_3)
	v_add_nc_u32_e32 v96, v83, v164
                                        ; implicit-def: $vgpr83
	v_cmpx_ne_u32_e64 v162, v163
	s_xor_b32 s8, exec_lo, s8
; %bb.327:                              ;   in Loop: Header=BB0_266 Depth=3
	s_delay_alu instid0(VALU_DEP_2) | instskip(SKIP_2) | instid1(VALU_DEP_2)
	v_cmp_lt_u32_e32 vcc_lo, 0xffffff, v96
	v_sub_nc_u32_e32 v83, v162, v163
	v_cndmask_b32_e64 v162, 0, 1, vcc_lo
	v_add_co_ci_u32_e32 v83, vcc_lo, 0, v83, vcc_lo
	s_delay_alu instid0(VALU_DEP_2)
	v_lshrrev_b32_e32 v96, v162, v96
; %bb.328:                              ;   in Loop: Header=BB0_266 Depth=3
	s_and_not1_saveexec_b32 s8, s8
; %bb.329:                              ;   in Loop: Header=BB0_266 Depth=3
	s_delay_alu instid0(VALU_DEP_1)
	v_bfe_u32 v83, v96, 23, 1
; %bb.330:                              ;   in Loop: Header=BB0_266 Depth=3
	s_or_b32 exec_lo, exec_lo, s8
	v_lshrrev_b32_e32 v96, 20, v96
	s_delay_alu instid0(VALU_DEP_2) | instskip(SKIP_2) | instid1(VALU_DEP_4)
	v_cmp_gt_i32_e32 vcc_lo, 16, v83
	v_lshrrev_b32_e32 v22, 24, v22
	v_min_i32_e32 v162, 15, v83
	v_cndmask_b32_e32 v96, 7, v96, vcc_lo
	s_delay_alu instid0(VALU_DEP_3) | instskip(NEXT) | instid1(VALU_DEP_3)
	v_and_b32_e32 v22, 0x80, v22
	v_lshlrev_b32_e32 v162, 3, v162
	s_delay_alu instid0(VALU_DEP_3) | instskip(NEXT) | instid1(VALU_DEP_1)
	v_or_b32_e32 v83, v83, v96
	v_cmp_ne_u32_e32 vcc_lo, 0, v83
	v_and_b32_e32 v163, 7, v96
	s_delay_alu instid0(VALU_DEP_1) | instskip(NEXT) | instid1(VALU_DEP_1)
	v_or3_b32 v22, v162, v22, v163
	v_cndmask_b32_e32 v96, 0, v22, vcc_lo
.LBB0_331:                              ;   in Loop: Header=BB0_266 Depth=3
	s_or_b32 exec_lo, exec_lo, s20
.LBB0_332:                              ;   in Loop: Header=BB0_266 Depth=3
	s_delay_alu instid0(SALU_CYCLE_1) | instskip(SKIP_3) | instid1(VALU_DEP_1)
	s_or_b32 exec_lo, exec_lo, s9
	v_alignbit_b32 v83, v160, v161, v20
	s_mov_b32 s8, 0
	s_mov_b32 s20, exec_lo
                                        ; implicit-def: $sgpr9
	v_and_b32_e32 v22, 0xff, v83
	s_delay_alu instid0(VALU_DEP_1)
	v_cmpx_lt_i16_e32 0x7f, v22
	s_xor_b32 s20, exec_lo, s20
	s_cbranch_execnz .LBB0_522
; %bb.333:                              ;   in Loop: Header=BB0_266 Depth=3
	s_or_saveexec_b32 s20, s20
	v_mov_b32_e32 v20, s9
	s_xor_b32 exec_lo, exec_lo, s20
	s_cbranch_execnz .LBB0_525
.LBB0_334:                              ;   in Loop: Header=BB0_266 Depth=3
	s_or_b32 exec_lo, exec_lo, s20
	s_and_saveexec_b32 s9, s8
	s_cbranch_execz .LBB0_336
.LBB0_335:                              ;   in Loop: Header=BB0_266 Depth=3
	v_and_b32_e32 v20, 7, v83
	v_bfe_u32 v161, v83, 3, 4
	v_lshlrev_b32_e32 v162, 24, v83
	s_delay_alu instid0(VALU_DEP_3) | instskip(NEXT) | instid1(VALU_DEP_3)
	v_clz_i32_u32_e32 v22, v20
	v_cmp_eq_u32_e32 vcc_lo, 0, v161
	s_delay_alu instid0(VALU_DEP_2) | instskip(NEXT) | instid1(VALU_DEP_1)
	v_min_u32_e32 v22, 32, v22
	v_subrev_nc_u32_e32 v160, 28, v22
	v_sub_nc_u32_e32 v22, 29, v22
	s_delay_alu instid0(VALU_DEP_2) | instskip(NEXT) | instid1(VALU_DEP_2)
	v_lshlrev_b32_e32 v160, v160, v83
	v_cndmask_b32_e32 v22, v161, v22, vcc_lo
	s_delay_alu instid0(VALU_DEP_2) | instskip(NEXT) | instid1(VALU_DEP_2)
	v_and_b32_e32 v160, 7, v160
	v_lshl_add_u32 v22, v22, 23, 0x3b800000
	s_delay_alu instid0(VALU_DEP_2) | instskip(SKIP_1) | instid1(VALU_DEP_2)
	v_cndmask_b32_e32 v20, v20, v160, vcc_lo
	v_and_b32_e32 v160, 0x80000000, v162
	v_lshlrev_b32_e32 v20, 20, v20
	s_delay_alu instid0(VALU_DEP_1)
	v_or3_b32 v20, v160, v22, v20
.LBB0_336:                              ;   in Loop: Header=BB0_266 Depth=3
	s_or_b32 exec_lo, exec_lo, s9
	s_delay_alu instid0(VALU_DEP_1) | instskip(NEXT) | instid1(VALU_DEP_1)
	v_mul_f32_e32 v20, v0, v20
	v_and_b32_e32 v22, 0x7f800000, v20
	s_delay_alu instid0(VALU_DEP_1)
	v_cmp_ne_u32_e32 vcc_lo, 0x7f800000, v22
	v_mov_b32_e32 v22, 0x80
	s_and_saveexec_b32 s9, vcc_lo
	s_cbranch_execz .LBB0_344
; %bb.337:                              ;   in Loop: Header=BB0_266 Depth=3
	v_mov_b32_e32 v22, 0
	s_mov_b32 s20, exec_lo
	v_cmpx_ne_u32_e32 0, v20
	s_cbranch_execz .LBB0_343
; %bb.338:                              ;   in Loop: Header=BB0_266 Depth=3
	v_bfe_u32 v22, v20, 23, 8
	s_delay_alu instid0(VALU_DEP_1) | instskip(SKIP_1) | instid1(VALU_DEP_2)
	v_sub_nc_u32_e32 v161, 0x78, v22
	v_cmp_gt_u32_e32 vcc_lo, 0x79, v22
	v_dual_cndmask_b32 v161, 0, v161 :: v_dual_and_b32 v160, 0x7fffff, v20
	s_delay_alu instid0(VALU_DEP_1) | instskip(SKIP_2) | instid1(VALU_DEP_4)
	v_or_b32_e32 v162, 0x800000, v160
	v_cmp_eq_u32_e32 vcc_lo, 0, v22
	v_add_nc_u32_e32 v22, 0xffffff89, v22
	v_cndmask_b32_e64 v161, v161, 0x77, vcc_lo
	s_delay_alu instid0(VALU_DEP_2) | instskip(SKIP_1) | instid1(VALU_DEP_3)
	v_cndmask_b32_e64 v22, v22, 0xffffff8a, vcc_lo
	v_cndmask_b32_e32 v160, v162, v160, vcc_lo
	v_lshl_add_u32 v162, 0x100000, v161, -1
	v_lshlrev_b32_e64 v165, v161, 0x80000
	s_delay_alu instid0(VALU_DEP_3) | instskip(SKIP_1) | instid1(VALU_DEP_4)
	v_lshrrev_b32_e32 v163, v161, v160
	v_add_nc_u32_e32 v161, v161, v22
	v_and_b32_e32 v160, v162, v160
	s_delay_alu instid0(VALU_DEP_3) | instskip(NEXT) | instid1(VALU_DEP_2)
	v_bfe_u32 v164, v163, 20, 1
	v_cmp_eq_u32_e64 s8, v160, v165
	s_delay_alu instid0(VALU_DEP_2) | instskip(NEXT) | instid1(VALU_DEP_1)
	v_add_nc_u32_e32 v162, -1, v164
	v_cndmask_b32_e64 v160, 0, v162, s8
	v_lshrrev_b32_e32 v162, 23, v163
	s_mov_b32 s8, exec_lo
	s_delay_alu instid0(VALU_DEP_2) | instskip(NEXT) | instid1(VALU_DEP_2)
	v_add_nc_u32_e32 v160, v160, v163
	v_xor_b32_e32 v162, 1, v162
	s_delay_alu instid0(VALU_DEP_2) | instskip(NEXT) | instid1(VALU_DEP_1)
	v_and_b32_e32 v22, 0xfffff, v160
	v_add_nc_u32_e32 v160, v22, v163
                                        ; implicit-def: $vgpr22
	s_delay_alu instid0(VALU_DEP_3)
	v_cmpx_ne_u32_e64 v161, v162
	s_xor_b32 s8, exec_lo, s8
; %bb.339:                              ;   in Loop: Header=BB0_266 Depth=3
	s_delay_alu instid0(VALU_DEP_2) | instskip(SKIP_2) | instid1(VALU_DEP_2)
	v_cmp_lt_u32_e32 vcc_lo, 0xffffff, v160
	v_sub_nc_u32_e32 v22, v161, v162
	v_cndmask_b32_e64 v161, 0, 1, vcc_lo
	v_add_co_ci_u32_e32 v22, vcc_lo, 0, v22, vcc_lo
	s_delay_alu instid0(VALU_DEP_2)
	v_lshrrev_b32_e32 v160, v161, v160
; %bb.340:                              ;   in Loop: Header=BB0_266 Depth=3
	s_and_not1_saveexec_b32 s8, s8
; %bb.341:                              ;   in Loop: Header=BB0_266 Depth=3
	s_delay_alu instid0(VALU_DEP_1)
	v_bfe_u32 v22, v160, 23, 1
; %bb.342:                              ;   in Loop: Header=BB0_266 Depth=3
	s_or_b32 exec_lo, exec_lo, s8
	v_lshrrev_b32_e32 v160, 20, v160
	s_delay_alu instid0(VALU_DEP_2) | instskip(SKIP_2) | instid1(VALU_DEP_2)
	v_cmp_gt_i32_e32 vcc_lo, 16, v22
	v_min_i32_e32 v161, 15, v22
	v_lshrrev_b32_e32 v20, 24, v20
	v_dual_cndmask_b32 v160, 7, v160 :: v_dual_lshlrev_b32 v161, 3, v161
	s_delay_alu instid0(VALU_DEP_2) | instskip(NEXT) | instid1(VALU_DEP_2)
	v_and_b32_e32 v20, 0x80, v20
	v_or_b32_e32 v22, v22, v160
	v_and_b32_e32 v162, 7, v160
	s_delay_alu instid0(VALU_DEP_2) | instskip(SKIP_1) | instid1(VALU_DEP_1)
	v_cmp_ne_u32_e32 vcc_lo, 0, v22
	v_and_b32_e32 v161, 0xf8, v161
	v_or3_b32 v20, v161, v20, v162
	s_delay_alu instid0(VALU_DEP_1)
	v_cndmask_b32_e32 v22, 0, v20, vcc_lo
.LBB0_343:                              ;   in Loop: Header=BB0_266 Depth=3
	s_or_b32 exec_lo, exec_lo, s20
.LBB0_344:                              ;   in Loop: Header=BB0_266 Depth=3
	s_delay_alu instid0(SALU_CYCLE_1) | instskip(SKIP_3) | instid1(VALU_DEP_1)
	s_or_b32 exec_lo, exec_lo, s9
	v_lshrrev_b16 v20, 8, v83
	s_mov_b32 s8, 0
	s_mov_b32 s20, exec_lo
                                        ; implicit-def: $sgpr9
	v_cmpx_lt_i16_e32 0x7f, v20
	s_xor_b32 s20, exec_lo, s20
	s_cbranch_execnz .LBB0_526
; %bb.345:                              ;   in Loop: Header=BB0_266 Depth=3
	s_or_saveexec_b32 s20, s20
	v_mov_b32_e32 v160, s9
	s_xor_b32 exec_lo, exec_lo, s20
	s_cbranch_execnz .LBB0_529
.LBB0_346:                              ;   in Loop: Header=BB0_266 Depth=3
	s_or_b32 exec_lo, exec_lo, s20
	s_and_saveexec_b32 s9, s8
	s_cbranch_execz .LBB0_348
.LBB0_347:                              ;   in Loop: Header=BB0_266 Depth=3
	v_and_b32_e32 v160, 0xffff, v20
	v_lshlrev_b32_e32 v20, 24, v20
	s_delay_alu instid0(VALU_DEP_2) | instskip(NEXT) | instid1(VALU_DEP_2)
	v_and_b32_e32 v161, 7, v160
	v_and_b32_e32 v20, 0x80000000, v20
	s_delay_alu instid0(VALU_DEP_2) | instskip(NEXT) | instid1(VALU_DEP_1)
	v_clz_i32_u32_e32 v162, v161
	v_min_u32_e32 v162, 32, v162
	s_delay_alu instid0(VALU_DEP_1) | instskip(SKIP_1) | instid1(VALU_DEP_2)
	v_subrev_nc_u32_e32 v163, 28, v162
	v_sub_nc_u32_e32 v162, 29, v162
	v_lshlrev_b32_e32 v163, v163, v160
	v_bfe_u32 v160, v160, 3, 4
	s_delay_alu instid0(VALU_DEP_2) | instskip(NEXT) | instid1(VALU_DEP_2)
	v_and_b32_e32 v163, 7, v163
	v_cmp_eq_u32_e32 vcc_lo, 0, v160
	s_delay_alu instid0(VALU_DEP_2) | instskip(NEXT) | instid1(VALU_DEP_1)
	v_dual_cndmask_b32 v160, v160, v162 :: v_dual_cndmask_b32 v161, v161, v163
	v_lshl_add_u32 v160, v160, 23, 0x3b800000
	s_delay_alu instid0(VALU_DEP_2) | instskip(NEXT) | instid1(VALU_DEP_1)
	v_lshlrev_b32_e32 v161, 20, v161
	v_or3_b32 v160, v20, v160, v161
.LBB0_348:                              ;   in Loop: Header=BB0_266 Depth=3
	s_or_b32 exec_lo, exec_lo, s9
	s_delay_alu instid0(VALU_DEP_1) | instskip(NEXT) | instid1(VALU_DEP_1)
	v_mul_f32_e32 v20, v0, v160
	v_and_b32_e32 v160, 0x7f800000, v20
	s_delay_alu instid0(VALU_DEP_1)
	v_cmp_ne_u32_e32 vcc_lo, 0x7f800000, v160
	v_mov_b32_e32 v160, 0x8000
	s_and_saveexec_b32 s9, vcc_lo
	s_cbranch_execz .LBB0_356
; %bb.349:                              ;   in Loop: Header=BB0_266 Depth=3
	v_mov_b32_e32 v160, 0
	s_mov_b32 s20, exec_lo
	v_cmpx_ne_u32_e32 0, v20
	s_cbranch_execz .LBB0_355
; %bb.350:                              ;   in Loop: Header=BB0_266 Depth=3
	v_bfe_u32 v160, v20, 23, 8
	s_delay_alu instid0(VALU_DEP_1) | instskip(SKIP_1) | instid1(VALU_DEP_2)
	v_sub_nc_u32_e32 v162, 0x78, v160
	v_cmp_gt_u32_e32 vcc_lo, 0x79, v160
	v_dual_cndmask_b32 v162, 0, v162 :: v_dual_and_b32 v161, 0x7fffff, v20
	s_delay_alu instid0(VALU_DEP_1) | instskip(SKIP_2) | instid1(VALU_DEP_4)
	v_or_b32_e32 v163, 0x800000, v161
	v_cmp_eq_u32_e32 vcc_lo, 0, v160
	v_add_nc_u32_e32 v160, 0xffffff89, v160
	v_cndmask_b32_e64 v162, v162, 0x77, vcc_lo
	s_delay_alu instid0(VALU_DEP_4) | instskip(NEXT) | instid1(VALU_DEP_3)
	v_cndmask_b32_e32 v161, v163, v161, vcc_lo
	v_cndmask_b32_e64 v160, v160, 0xffffff8a, vcc_lo
	s_delay_alu instid0(VALU_DEP_3) | instskip(NEXT) | instid1(VALU_DEP_3)
	v_lshl_add_u32 v163, 0x100000, v162, -1
	v_lshrrev_b32_e32 v164, v162, v161
	v_lshlrev_b32_e64 v166, v162, 0x80000
	s_delay_alu instid0(VALU_DEP_4) | instskip(NEXT) | instid1(VALU_DEP_4)
	v_add_nc_u32_e32 v162, v162, v160
	v_and_b32_e32 v161, v163, v161
	s_delay_alu instid0(VALU_DEP_4) | instskip(NEXT) | instid1(VALU_DEP_2)
	v_bfe_u32 v165, v164, 20, 1
	v_cmp_eq_u32_e64 s8, v161, v166
	s_delay_alu instid0(VALU_DEP_2) | instskip(NEXT) | instid1(VALU_DEP_1)
	v_add_nc_u32_e32 v163, -1, v165
	v_cndmask_b32_e64 v161, 0, v163, s8
	v_lshrrev_b32_e32 v163, 23, v164
	s_mov_b32 s8, exec_lo
	s_delay_alu instid0(VALU_DEP_2) | instskip(NEXT) | instid1(VALU_DEP_2)
	v_add_nc_u32_e32 v161, v161, v164
	v_xor_b32_e32 v163, 1, v163
	s_delay_alu instid0(VALU_DEP_2) | instskip(NEXT) | instid1(VALU_DEP_1)
	v_and_b32_e32 v160, 0xfffff, v161
	v_add_nc_u32_e32 v161, v160, v164
                                        ; implicit-def: $vgpr160
	s_delay_alu instid0(VALU_DEP_3)
	v_cmpx_ne_u32_e64 v162, v163
	s_xor_b32 s8, exec_lo, s8
; %bb.351:                              ;   in Loop: Header=BB0_266 Depth=3
	s_delay_alu instid0(VALU_DEP_2) | instskip(SKIP_2) | instid1(VALU_DEP_2)
	v_cmp_lt_u32_e32 vcc_lo, 0xffffff, v161
	v_sub_nc_u32_e32 v160, v162, v163
	v_cndmask_b32_e64 v162, 0, 1, vcc_lo
	v_add_co_ci_u32_e32 v160, vcc_lo, 0, v160, vcc_lo
	s_delay_alu instid0(VALU_DEP_2)
	v_lshrrev_b32_e32 v161, v162, v161
; %bb.352:                              ;   in Loop: Header=BB0_266 Depth=3
	s_and_not1_saveexec_b32 s8, s8
; %bb.353:                              ;   in Loop: Header=BB0_266 Depth=3
	s_delay_alu instid0(VALU_DEP_1)
	v_bfe_u32 v160, v161, 23, 1
; %bb.354:                              ;   in Loop: Header=BB0_266 Depth=3
	s_or_b32 exec_lo, exec_lo, s8
	v_lshrrev_b32_e32 v161, 20, v161
	s_delay_alu instid0(VALU_DEP_2) | instskip(SKIP_2) | instid1(VALU_DEP_2)
	v_cmp_gt_i32_e32 vcc_lo, 16, v160
	v_min_i32_e32 v162, 15, v160
	v_lshrrev_b32_e32 v20, 24, v20
	v_dual_cndmask_b32 v161, 7, v161 :: v_dual_lshlrev_b32 v162, 3, v162
	s_delay_alu instid0(VALU_DEP_2) | instskip(NEXT) | instid1(VALU_DEP_2)
	v_and_b32_e32 v20, 0x80, v20
	v_or_b32_e32 v160, v160, v161
	s_delay_alu instid0(VALU_DEP_3) | instskip(NEXT) | instid1(VALU_DEP_2)
	v_and_b32_e32 v162, 0xf8, v162
	v_cmp_ne_u32_e32 vcc_lo, 0, v160
	v_and_b32_e32 v163, 7, v161
	s_delay_alu instid0(VALU_DEP_1) | instskip(NEXT) | instid1(VALU_DEP_1)
	v_or3_b32 v20, v20, v162, v163
	v_lshlrev_b32_e32 v20, 8, v20
	s_delay_alu instid0(VALU_DEP_1)
	v_cndmask_b32_e32 v160, 0, v20, vcc_lo
.LBB0_355:                              ;   in Loop: Header=BB0_266 Depth=3
	s_or_b32 exec_lo, exec_lo, s20
.LBB0_356:                              ;   in Loop: Header=BB0_266 Depth=3
	s_delay_alu instid0(SALU_CYCLE_1) | instskip(SKIP_3) | instid1(VALU_DEP_1)
	s_or_b32 exec_lo, exec_lo, s9
	v_lshrrev_b32_e32 v20, 16, v83
	s_mov_b32 s8, 0
	s_mov_b32 s20, exec_lo
                                        ; implicit-def: $sgpr9
	v_and_b32_e32 v162, 0xff, v20
	s_delay_alu instid0(VALU_DEP_1)
	v_cmpx_lt_i16_e64 0x7f, v162
	s_xor_b32 s20, exec_lo, s20
	s_cbranch_execnz .LBB0_530
; %bb.357:                              ;   in Loop: Header=BB0_266 Depth=3
	s_or_saveexec_b32 s20, s20
	v_mov_b32_e32 v161, s9
	s_xor_b32 exec_lo, exec_lo, s20
	s_cbranch_execnz .LBB0_533
.LBB0_358:                              ;   in Loop: Header=BB0_266 Depth=3
	s_or_b32 exec_lo, exec_lo, s20
	s_and_saveexec_b32 s9, s8
	s_cbranch_execz .LBB0_360
.LBB0_359:                              ;   in Loop: Header=BB0_266 Depth=3
	v_bfe_u32 v161, v83, 16, 3
	v_lshlrev_b32_e32 v164, 8, v83
	s_delay_alu instid0(VALU_DEP_2) | instskip(NEXT) | instid1(VALU_DEP_1)
	v_clz_i32_u32_e32 v162, v161
	v_min_u32_e32 v162, 32, v162
	s_delay_alu instid0(VALU_DEP_1) | instskip(SKIP_1) | instid1(VALU_DEP_2)
	v_subrev_nc_u32_e32 v163, 28, v162
	v_sub_nc_u32_e32 v162, 29, v162
	v_lshlrev_b32_e32 v20, v163, v20
	v_bfe_u32 v163, v83, 19, 4
	s_delay_alu instid0(VALU_DEP_2) | instskip(NEXT) | instid1(VALU_DEP_2)
	v_and_b32_e32 v20, 7, v20
	v_cmp_eq_u32_e32 vcc_lo, 0, v163
	v_cndmask_b32_e32 v162, v163, v162, vcc_lo
	s_delay_alu instid0(VALU_DEP_3) | instskip(SKIP_1) | instid1(VALU_DEP_3)
	v_cndmask_b32_e32 v20, v161, v20, vcc_lo
	v_and_b32_e32 v161, 0x80000000, v164
	v_lshl_add_u32 v162, v162, 23, 0x3b800000
	s_delay_alu instid0(VALU_DEP_3) | instskip(NEXT) | instid1(VALU_DEP_1)
	v_lshlrev_b32_e32 v20, 20, v20
	v_or3_b32 v161, v161, v162, v20
.LBB0_360:                              ;   in Loop: Header=BB0_266 Depth=3
	s_or_b32 exec_lo, exec_lo, s9
	s_delay_alu instid0(VALU_DEP_1) | instskip(NEXT) | instid1(VALU_DEP_1)
	v_mul_f32_e32 v161, v0, v161
	v_and_b32_e32 v20, 0x7f800000, v161
	s_delay_alu instid0(VALU_DEP_1)
	v_cmp_ne_u32_e32 vcc_lo, 0x7f800000, v20
	v_mov_b32_e32 v20, 0x80
	s_and_saveexec_b32 s9, vcc_lo
	s_cbranch_execz .LBB0_368
; %bb.361:                              ;   in Loop: Header=BB0_266 Depth=3
	v_mov_b32_e32 v20, 0
	s_mov_b32 s20, exec_lo
	v_cmpx_ne_u32_e32 0, v161
	s_cbranch_execz .LBB0_367
; %bb.362:                              ;   in Loop: Header=BB0_266 Depth=3
	v_bfe_u32 v20, v161, 23, 8
	s_delay_alu instid0(VALU_DEP_1) | instskip(SKIP_1) | instid1(VALU_DEP_2)
	v_sub_nc_u32_e32 v163, 0x78, v20
	v_cmp_gt_u32_e32 vcc_lo, 0x79, v20
	v_dual_cndmask_b32 v163, 0, v163 :: v_dual_and_b32 v162, 0x7fffff, v161
	s_delay_alu instid0(VALU_DEP_1) | instskip(SKIP_2) | instid1(VALU_DEP_4)
	v_or_b32_e32 v164, 0x800000, v162
	v_cmp_eq_u32_e32 vcc_lo, 0, v20
	v_add_nc_u32_e32 v20, 0xffffff89, v20
	v_cndmask_b32_e64 v163, v163, 0x77, vcc_lo
	s_delay_alu instid0(VALU_DEP_2) | instskip(SKIP_1) | instid1(VALU_DEP_3)
	v_cndmask_b32_e64 v20, v20, 0xffffff8a, vcc_lo
	v_cndmask_b32_e32 v162, v164, v162, vcc_lo
	v_lshl_add_u32 v164, 0x100000, v163, -1
	v_lshlrev_b32_e64 v167, v163, 0x80000
	s_delay_alu instid0(VALU_DEP_3) | instskip(SKIP_1) | instid1(VALU_DEP_4)
	v_lshrrev_b32_e32 v165, v163, v162
	v_add_nc_u32_e32 v163, v163, v20
	v_and_b32_e32 v162, v164, v162
	s_delay_alu instid0(VALU_DEP_3) | instskip(NEXT) | instid1(VALU_DEP_2)
	v_bfe_u32 v166, v165, 20, 1
	v_cmp_eq_u32_e64 s8, v162, v167
	s_delay_alu instid0(VALU_DEP_2) | instskip(NEXT) | instid1(VALU_DEP_1)
	v_add_nc_u32_e32 v164, -1, v166
	v_cndmask_b32_e64 v162, 0, v164, s8
	v_lshrrev_b32_e32 v164, 23, v165
	s_mov_b32 s8, exec_lo
	s_delay_alu instid0(VALU_DEP_2) | instskip(NEXT) | instid1(VALU_DEP_2)
	v_add_nc_u32_e32 v162, v162, v165
	v_xor_b32_e32 v164, 1, v164
	s_delay_alu instid0(VALU_DEP_2) | instskip(NEXT) | instid1(VALU_DEP_1)
	v_and_b32_e32 v20, 0xfffff, v162
	v_add_nc_u32_e32 v162, v20, v165
                                        ; implicit-def: $vgpr20
	s_delay_alu instid0(VALU_DEP_3)
	v_cmpx_ne_u32_e64 v163, v164
	s_xor_b32 s8, exec_lo, s8
; %bb.363:                              ;   in Loop: Header=BB0_266 Depth=3
	s_delay_alu instid0(VALU_DEP_2) | instskip(SKIP_2) | instid1(VALU_DEP_2)
	v_cmp_lt_u32_e32 vcc_lo, 0xffffff, v162
	v_sub_nc_u32_e32 v20, v163, v164
	v_cndmask_b32_e64 v163, 0, 1, vcc_lo
	v_add_co_ci_u32_e32 v20, vcc_lo, 0, v20, vcc_lo
	s_delay_alu instid0(VALU_DEP_2)
	v_lshrrev_b32_e32 v162, v163, v162
; %bb.364:                              ;   in Loop: Header=BB0_266 Depth=3
	s_and_not1_saveexec_b32 s8, s8
; %bb.365:                              ;   in Loop: Header=BB0_266 Depth=3
	s_delay_alu instid0(VALU_DEP_1)
	v_bfe_u32 v20, v162, 23, 1
; %bb.366:                              ;   in Loop: Header=BB0_266 Depth=3
	s_or_b32 exec_lo, exec_lo, s8
	v_lshrrev_b32_e32 v162, 20, v162
	s_delay_alu instid0(VALU_DEP_2) | instskip(SKIP_2) | instid1(VALU_DEP_2)
	v_cmp_gt_i32_e32 vcc_lo, 16, v20
	v_min_i32_e32 v163, 15, v20
	v_lshrrev_b32_e32 v161, 24, v161
	v_dual_cndmask_b32 v162, 7, v162 :: v_dual_lshlrev_b32 v163, 3, v163
	s_delay_alu instid0(VALU_DEP_2) | instskip(NEXT) | instid1(VALU_DEP_2)
	v_and_b32_e32 v161, 0x80, v161
	v_or_b32_e32 v20, v20, v162
	v_and_b32_e32 v164, 7, v162
	s_delay_alu instid0(VALU_DEP_2) | instskip(SKIP_1) | instid1(VALU_DEP_1)
	v_cmp_ne_u32_e32 vcc_lo, 0, v20
	v_and_b32_e32 v163, 0xf8, v163
	v_or3_b32 v161, v163, v161, v164
	s_delay_alu instid0(VALU_DEP_1)
	v_cndmask_b32_e32 v20, 0, v161, vcc_lo
.LBB0_367:                              ;   in Loop: Header=BB0_266 Depth=3
	s_or_b32 exec_lo, exec_lo, s20
.LBB0_368:                              ;   in Loop: Header=BB0_266 Depth=3
	s_delay_alu instid0(SALU_CYCLE_1) | instskip(SKIP_3) | instid1(VALU_DEP_1)
	s_or_b32 exec_lo, exec_lo, s9
	v_lshrrev_b32_e32 v161, 24, v83
	s_mov_b32 s8, 0
	s_mov_b32 s20, exec_lo
                                        ; implicit-def: $sgpr9
	v_cmpx_lt_i16_e64 0x7f, v161
	s_xor_b32 s20, exec_lo, s20
	s_cbranch_execnz .LBB0_534
; %bb.369:                              ;   in Loop: Header=BB0_266 Depth=3
	s_or_saveexec_b32 s20, s20
	v_mov_b32_e32 v162, s9
	s_xor_b32 exec_lo, exec_lo, s20
	s_cbranch_execnz .LBB0_537
.LBB0_370:                              ;   in Loop: Header=BB0_266 Depth=3
	s_or_b32 exec_lo, exec_lo, s20
	s_and_saveexec_b32 s9, s8
	s_cbranch_execz .LBB0_372
.LBB0_371:                              ;   in Loop: Header=BB0_266 Depth=3
	v_bfe_u32 v162, v83, 24, 3
	s_delay_alu instid0(VALU_DEP_1) | instskip(NEXT) | instid1(VALU_DEP_1)
	v_clz_i32_u32_e32 v163, v162
	v_min_u32_e32 v163, 32, v163
	s_delay_alu instid0(VALU_DEP_1) | instskip(SKIP_1) | instid1(VALU_DEP_2)
	v_subrev_nc_u32_e32 v164, 28, v163
	v_sub_nc_u32_e32 v163, 29, v163
	v_lshlrev_b32_e32 v161, v164, v161
	v_bfe_u32 v164, v83, 27, 4
	v_and_b32_e32 v83, 0x80000000, v83
	s_delay_alu instid0(VALU_DEP_3) | instskip(NEXT) | instid1(VALU_DEP_3)
	v_and_b32_e32 v161, 7, v161
	v_cmp_eq_u32_e32 vcc_lo, 0, v164
	v_cndmask_b32_e32 v163, v164, v163, vcc_lo
	s_delay_alu instid0(VALU_DEP_3) | instskip(NEXT) | instid1(VALU_DEP_2)
	v_cndmask_b32_e32 v161, v162, v161, vcc_lo
	v_lshl_add_u32 v162, v163, 23, 0x3b800000
	s_delay_alu instid0(VALU_DEP_2) | instskip(NEXT) | instid1(VALU_DEP_1)
	v_lshlrev_b32_e32 v161, 20, v161
	v_or3_b32 v162, v83, v162, v161
.LBB0_372:                              ;   in Loop: Header=BB0_266 Depth=3
	s_or_b32 exec_lo, exec_lo, s9
	s_delay_alu instid0(VALU_DEP_1) | instskip(NEXT) | instid1(VALU_DEP_1)
	v_mul_f32_e32 v161, v0, v162
	v_and_b32_e32 v83, 0x7f800000, v161
	s_delay_alu instid0(VALU_DEP_1)
	v_cmp_ne_u32_e32 vcc_lo, 0x7f800000, v83
	v_mov_b32_e32 v83, 0x8000
	s_and_saveexec_b32 s9, vcc_lo
	s_cbranch_execz .LBB0_380
; %bb.373:                              ;   in Loop: Header=BB0_266 Depth=3
	v_mov_b32_e32 v83, 0
	s_mov_b32 s20, exec_lo
	v_cmpx_ne_u32_e32 0, v161
	s_cbranch_execz .LBB0_379
; %bb.374:                              ;   in Loop: Header=BB0_266 Depth=3
	v_bfe_u32 v83, v161, 23, 8
	s_delay_alu instid0(VALU_DEP_1) | instskip(SKIP_1) | instid1(VALU_DEP_2)
	v_sub_nc_u32_e32 v163, 0x78, v83
	v_cmp_gt_u32_e32 vcc_lo, 0x79, v83
	v_dual_cndmask_b32 v163, 0, v163 :: v_dual_and_b32 v162, 0x7fffff, v161
	s_delay_alu instid0(VALU_DEP_1) | instskip(SKIP_2) | instid1(VALU_DEP_4)
	v_or_b32_e32 v164, 0x800000, v162
	v_cmp_eq_u32_e32 vcc_lo, 0, v83
	v_add_nc_u32_e32 v83, 0xffffff89, v83
	v_cndmask_b32_e64 v163, v163, 0x77, vcc_lo
	s_delay_alu instid0(VALU_DEP_4) | instskip(NEXT) | instid1(VALU_DEP_3)
	v_cndmask_b32_e32 v162, v164, v162, vcc_lo
	v_cndmask_b32_e64 v83, v83, 0xffffff8a, vcc_lo
	s_delay_alu instid0(VALU_DEP_3) | instskip(NEXT) | instid1(VALU_DEP_3)
	v_lshl_add_u32 v164, 0x100000, v163, -1
	v_lshrrev_b32_e32 v165, v163, v162
	v_lshlrev_b32_e64 v167, v163, 0x80000
	s_delay_alu instid0(VALU_DEP_4) | instskip(NEXT) | instid1(VALU_DEP_4)
	v_add_nc_u32_e32 v163, v163, v83
	v_and_b32_e32 v162, v164, v162
	s_delay_alu instid0(VALU_DEP_4) | instskip(NEXT) | instid1(VALU_DEP_2)
	v_bfe_u32 v166, v165, 20, 1
	v_cmp_eq_u32_e64 s8, v162, v167
	s_delay_alu instid0(VALU_DEP_2) | instskip(NEXT) | instid1(VALU_DEP_1)
	v_add_nc_u32_e32 v164, -1, v166
	v_cndmask_b32_e64 v162, 0, v164, s8
	v_lshrrev_b32_e32 v164, 23, v165
	s_mov_b32 s8, exec_lo
	s_delay_alu instid0(VALU_DEP_2) | instskip(NEXT) | instid1(VALU_DEP_2)
	v_add_nc_u32_e32 v162, v162, v165
	v_xor_b32_e32 v164, 1, v164
	s_delay_alu instid0(VALU_DEP_2) | instskip(NEXT) | instid1(VALU_DEP_1)
	v_and_b32_e32 v83, 0xfffff, v162
	v_add_nc_u32_e32 v162, v83, v165
                                        ; implicit-def: $vgpr83
	s_delay_alu instid0(VALU_DEP_3)
	v_cmpx_ne_u32_e64 v163, v164
	s_xor_b32 s8, exec_lo, s8
; %bb.375:                              ;   in Loop: Header=BB0_266 Depth=3
	s_delay_alu instid0(VALU_DEP_2) | instskip(SKIP_2) | instid1(VALU_DEP_2)
	v_cmp_lt_u32_e32 vcc_lo, 0xffffff, v162
	v_sub_nc_u32_e32 v83, v163, v164
	v_cndmask_b32_e64 v163, 0, 1, vcc_lo
	v_add_co_ci_u32_e32 v83, vcc_lo, 0, v83, vcc_lo
	s_delay_alu instid0(VALU_DEP_2)
	v_lshrrev_b32_e32 v162, v163, v162
; %bb.376:                              ;   in Loop: Header=BB0_266 Depth=3
	s_and_not1_saveexec_b32 s8, s8
; %bb.377:                              ;   in Loop: Header=BB0_266 Depth=3
	s_delay_alu instid0(VALU_DEP_1)
	v_bfe_u32 v83, v162, 23, 1
; %bb.378:                              ;   in Loop: Header=BB0_266 Depth=3
	s_or_b32 exec_lo, exec_lo, s8
	v_lshrrev_b32_e32 v162, 20, v162
	s_delay_alu instid0(VALU_DEP_2) | instskip(SKIP_2) | instid1(VALU_DEP_2)
	v_cmp_gt_i32_e32 vcc_lo, 16, v83
	v_min_i32_e32 v163, 15, v83
	v_lshrrev_b32_e32 v161, 24, v161
	v_dual_cndmask_b32 v162, 7, v162 :: v_dual_lshlrev_b32 v163, 3, v163
	s_delay_alu instid0(VALU_DEP_2) | instskip(NEXT) | instid1(VALU_DEP_2)
	v_and_b32_e32 v161, 0x80, v161
	v_or_b32_e32 v83, v83, v162
	s_delay_alu instid0(VALU_DEP_3) | instskip(NEXT) | instid1(VALU_DEP_2)
	v_and_b32_e32 v163, 0xf8, v163
	v_cmp_ne_u32_e32 vcc_lo, 0, v83
	v_and_b32_e32 v164, 7, v162
	s_delay_alu instid0(VALU_DEP_1) | instskip(NEXT) | instid1(VALU_DEP_1)
	v_or3_b32 v161, v161, v163, v164
	v_lshlrev_b32_e32 v161, 8, v161
	s_delay_alu instid0(VALU_DEP_1)
	v_cndmask_b32_e32 v83, 0, v161, vcc_lo
.LBB0_379:                              ;   in Loop: Header=BB0_266 Depth=3
	s_or_b32 exec_lo, exec_lo, s20
.LBB0_380:                              ;   in Loop: Header=BB0_266 Depth=3
	s_delay_alu instid0(SALU_CYCLE_1) | instskip(SKIP_3) | instid1(VALU_DEP_1)
	s_or_b32 exec_lo, exec_lo, s9
	v_and_b32_e32 v162, 0xff, v19
	s_mov_b32 s8, 0
	s_mov_b32 s20, exec_lo
                                        ; implicit-def: $sgpr9
	v_cmpx_lt_i16_e64 0x7f, v162
	s_xor_b32 s20, exec_lo, s20
	s_cbranch_execnz .LBB0_538
; %bb.381:                              ;   in Loop: Header=BB0_266 Depth=3
	s_or_saveexec_b32 s20, s20
	v_mov_b32_e32 v161, s9
	s_xor_b32 exec_lo, exec_lo, s20
	s_cbranch_execnz .LBB0_541
.LBB0_382:                              ;   in Loop: Header=BB0_266 Depth=3
	s_or_b32 exec_lo, exec_lo, s20
	s_and_saveexec_b32 s9, s8
	s_cbranch_execz .LBB0_384
.LBB0_383:                              ;   in Loop: Header=BB0_266 Depth=3
	v_bfe_u32 v164, v19, 3, 4
	v_lshlrev_b32_e32 v165, 24, v19
	s_delay_alu instid0(VALU_DEP_2) | instskip(SKIP_1) | instid1(VALU_DEP_1)
	v_cmp_eq_u32_e32 vcc_lo, 0, v164
	v_and_b32_e32 v161, 7, v19
	v_clz_i32_u32_e32 v162, v161
	s_delay_alu instid0(VALU_DEP_1) | instskip(NEXT) | instid1(VALU_DEP_1)
	v_min_u32_e32 v162, 32, v162
	v_subrev_nc_u32_e32 v163, 28, v162
	v_sub_nc_u32_e32 v162, 29, v162
	s_delay_alu instid0(VALU_DEP_1) | instskip(NEXT) | instid1(VALU_DEP_1)
	v_dual_cndmask_b32 v162, v164, v162 :: v_dual_lshlrev_b32 v163, v163, v19
	v_and_b32_e32 v163, 7, v163
	s_delay_alu instid0(VALU_DEP_2) | instskip(NEXT) | instid1(VALU_DEP_2)
	v_lshl_add_u32 v162, v162, 23, 0x3b800000
	v_cndmask_b32_e32 v161, v161, v163, vcc_lo
	v_and_b32_e32 v163, 0x80000000, v165
	s_delay_alu instid0(VALU_DEP_2) | instskip(NEXT) | instid1(VALU_DEP_1)
	v_lshlrev_b32_e32 v161, 20, v161
	v_or3_b32 v161, v163, v162, v161
.LBB0_384:                              ;   in Loop: Header=BB0_266 Depth=3
	s_or_b32 exec_lo, exec_lo, s9
	v_and_b32_e32 v163, 0xff, v17
	s_mov_b32 s8, 0
	s_mov_b32 s20, exec_lo
                                        ; implicit-def: $sgpr9
	s_delay_alu instid0(VALU_DEP_1)
	v_cmpx_lt_i16_e64 0x7f, v163
	s_xor_b32 s20, exec_lo, s20
	s_cbranch_execnz .LBB0_542
; %bb.385:                              ;   in Loop: Header=BB0_266 Depth=3
	s_or_saveexec_b32 s20, s20
	v_mov_b32_e32 v162, s9
	s_xor_b32 exec_lo, exec_lo, s20
	s_cbranch_execnz .LBB0_545
.LBB0_386:                              ;   in Loop: Header=BB0_266 Depth=3
	s_or_b32 exec_lo, exec_lo, s20
	s_and_saveexec_b32 s9, s8
	s_cbranch_execz .LBB0_388
.LBB0_387:                              ;   in Loop: Header=BB0_266 Depth=3
	v_bfe_u32 v165, v17, 3, 4
	s_delay_alu instid0(VALU_DEP_1) | instskip(SKIP_1) | instid1(VALU_DEP_1)
	v_cmp_eq_u32_e32 vcc_lo, 0, v165
	v_and_b32_e32 v162, 7, v17
	v_clz_i32_u32_e32 v163, v162
	s_delay_alu instid0(VALU_DEP_1) | instskip(NEXT) | instid1(VALU_DEP_1)
	v_min_u32_e32 v163, 32, v163
	v_subrev_nc_u32_e32 v164, 28, v163
	v_sub_nc_u32_e32 v163, 29, v163
	s_delay_alu instid0(VALU_DEP_1) | instskip(NEXT) | instid1(VALU_DEP_1)
	v_dual_cndmask_b32 v163, v165, v163 :: v_dual_lshlrev_b32 v164, v164, v17
	v_and_b32_e32 v164, 7, v164
	v_lshlrev_b32_e32 v17, 24, v17
	s_delay_alu instid0(VALU_DEP_3) | instskip(NEXT) | instid1(VALU_DEP_2)
	v_lshl_add_u32 v163, v163, 23, 0x3b800000
	v_dual_cndmask_b32 v162, v162, v164 :: v_dual_and_b32 v17, 0x80000000, v17
	s_delay_alu instid0(VALU_DEP_1) | instskip(NEXT) | instid1(VALU_DEP_1)
	v_lshlrev_b32_e32 v162, 20, v162
	v_or3_b32 v162, v17, v163, v162
.LBB0_388:                              ;   in Loop: Header=BB0_266 Depth=3
	s_or_b32 exec_lo, exec_lo, s9
	s_delay_alu instid0(VALU_DEP_1) | instskip(NEXT) | instid1(VALU_DEP_1)
	v_add_f32_e32 v161, v161, v162
	v_and_b32_e32 v17, 0x7f800000, v161
	s_delay_alu instid0(VALU_DEP_1)
	v_cmp_ne_u32_e32 vcc_lo, 0x7f800000, v17
	v_mov_b32_e32 v17, 0x80
	s_and_saveexec_b32 s9, vcc_lo
	s_cbranch_execz .LBB0_396
; %bb.389:                              ;   in Loop: Header=BB0_266 Depth=3
	v_mov_b32_e32 v17, 0
	s_mov_b32 s20, exec_lo
	v_cmpx_ne_u32_e32 0, v161
	s_cbranch_execz .LBB0_395
; %bb.390:                              ;   in Loop: Header=BB0_266 Depth=3
	v_bfe_u32 v17, v161, 23, 8
	s_delay_alu instid0(VALU_DEP_1) | instskip(SKIP_1) | instid1(VALU_DEP_2)
	v_sub_nc_u32_e32 v163, 0x78, v17
	v_cmp_gt_u32_e32 vcc_lo, 0x79, v17
	v_dual_cndmask_b32 v163, 0, v163 :: v_dual_and_b32 v162, 0x7fffff, v161
	s_delay_alu instid0(VALU_DEP_1) | instskip(SKIP_2) | instid1(VALU_DEP_4)
	v_or_b32_e32 v164, 0x800000, v162
	v_cmp_eq_u32_e32 vcc_lo, 0, v17
	v_add_nc_u32_e32 v17, 0xffffff89, v17
	v_cndmask_b32_e64 v163, v163, 0x77, vcc_lo
	s_delay_alu instid0(VALU_DEP_4) | instskip(NEXT) | instid1(VALU_DEP_3)
	v_cndmask_b32_e32 v162, v164, v162, vcc_lo
	v_cndmask_b32_e64 v17, v17, 0xffffff8a, vcc_lo
	s_delay_alu instid0(VALU_DEP_3) | instskip(NEXT) | instid1(VALU_DEP_3)
	v_lshl_add_u32 v164, 0x100000, v163, -1
	v_lshrrev_b32_e32 v165, v163, v162
	v_lshlrev_b32_e64 v167, v163, 0x80000
	s_delay_alu instid0(VALU_DEP_4) | instskip(NEXT) | instid1(VALU_DEP_4)
	v_add_nc_u32_e32 v163, v163, v17
	v_and_b32_e32 v162, v164, v162
	s_delay_alu instid0(VALU_DEP_4) | instskip(NEXT) | instid1(VALU_DEP_2)
	v_bfe_u32 v166, v165, 20, 1
	v_cmp_eq_u32_e64 s8, v162, v167
	s_delay_alu instid0(VALU_DEP_2) | instskip(NEXT) | instid1(VALU_DEP_1)
	v_add_nc_u32_e32 v164, -1, v166
	v_cndmask_b32_e64 v162, 0, v164, s8
	v_lshrrev_b32_e32 v164, 23, v165
	s_mov_b32 s8, exec_lo
	s_delay_alu instid0(VALU_DEP_2) | instskip(NEXT) | instid1(VALU_DEP_2)
	v_add_nc_u32_e32 v162, v162, v165
	v_xor_b32_e32 v164, 1, v164
	s_delay_alu instid0(VALU_DEP_2) | instskip(NEXT) | instid1(VALU_DEP_1)
	v_and_b32_e32 v17, 0xfffff, v162
	v_add_nc_u32_e32 v162, v17, v165
                                        ; implicit-def: $vgpr17
	s_delay_alu instid0(VALU_DEP_3)
	v_cmpx_ne_u32_e64 v163, v164
	s_xor_b32 s8, exec_lo, s8
; %bb.391:                              ;   in Loop: Header=BB0_266 Depth=3
	s_delay_alu instid0(VALU_DEP_2) | instskip(SKIP_2) | instid1(VALU_DEP_2)
	v_cmp_lt_u32_e32 vcc_lo, 0xffffff, v162
	v_sub_nc_u32_e32 v17, v163, v164
	v_cndmask_b32_e64 v163, 0, 1, vcc_lo
	v_add_co_ci_u32_e32 v17, vcc_lo, 0, v17, vcc_lo
	s_delay_alu instid0(VALU_DEP_2)
	v_lshrrev_b32_e32 v162, v163, v162
; %bb.392:                              ;   in Loop: Header=BB0_266 Depth=3
	s_and_not1_saveexec_b32 s8, s8
; %bb.393:                              ;   in Loop: Header=BB0_266 Depth=3
	s_delay_alu instid0(VALU_DEP_1)
	v_bfe_u32 v17, v162, 23, 1
; %bb.394:                              ;   in Loop: Header=BB0_266 Depth=3
	s_or_b32 exec_lo, exec_lo, s8
	v_lshrrev_b32_e32 v162, 20, v162
	s_delay_alu instid0(VALU_DEP_2) | instskip(SKIP_2) | instid1(VALU_DEP_2)
	v_cmp_gt_i32_e32 vcc_lo, 16, v17
	v_lshrrev_b32_e32 v161, 24, v161
	v_min_i32_e32 v163, 15, v17
	v_dual_cndmask_b32 v162, 7, v162 :: v_dual_and_b32 v161, 0x80, v161
	s_delay_alu instid0(VALU_DEP_2) | instskip(NEXT) | instid1(VALU_DEP_2)
	v_lshlrev_b32_e32 v163, 3, v163
	v_or_b32_e32 v17, v17, v162
	s_delay_alu instid0(VALU_DEP_1) | instskip(SKIP_1) | instid1(VALU_DEP_1)
	v_cmp_ne_u32_e32 vcc_lo, 0, v17
	v_and_b32_e32 v164, 7, v162
	v_or3_b32 v161, v163, v161, v164
	s_delay_alu instid0(VALU_DEP_1)
	v_cndmask_b32_e32 v17, 0, v161, vcc_lo
.LBB0_395:                              ;   in Loop: Header=BB0_266 Depth=3
	s_or_b32 exec_lo, exec_lo, s20
.LBB0_396:                              ;   in Loop: Header=BB0_266 Depth=3
	s_delay_alu instid0(SALU_CYCLE_1) | instskip(SKIP_3) | instid1(VALU_DEP_1)
	s_or_b32 exec_lo, exec_lo, s9
	v_lshrrev_b16 v162, 8, v19
	s_mov_b32 s8, 0
	s_mov_b32 s20, exec_lo
                                        ; implicit-def: $sgpr9
	v_cmpx_lt_i16_e64 0x7f, v162
	s_xor_b32 s20, exec_lo, s20
	s_cbranch_execnz .LBB0_546
; %bb.397:                              ;   in Loop: Header=BB0_266 Depth=3
	s_or_saveexec_b32 s20, s20
	v_mov_b32_e32 v161, s9
	s_xor_b32 exec_lo, exec_lo, s20
	s_cbranch_execnz .LBB0_549
.LBB0_398:                              ;   in Loop: Header=BB0_266 Depth=3
	s_or_b32 exec_lo, exec_lo, s20
	s_and_saveexec_b32 s9, s8
	s_cbranch_execz .LBB0_400
.LBB0_399:                              ;   in Loop: Header=BB0_266 Depth=3
	v_and_b32_e32 v161, 0xffff, v162
	s_delay_alu instid0(VALU_DEP_1) | instskip(NEXT) | instid1(VALU_DEP_1)
	v_and_b32_e32 v163, 7, v161
	v_clz_i32_u32_e32 v164, v163
	s_delay_alu instid0(VALU_DEP_1) | instskip(NEXT) | instid1(VALU_DEP_1)
	v_min_u32_e32 v164, 32, v164
	v_subrev_nc_u32_e32 v165, 28, v164
	v_sub_nc_u32_e32 v164, 29, v164
	s_delay_alu instid0(VALU_DEP_2) | instskip(SKIP_1) | instid1(VALU_DEP_2)
	v_lshlrev_b32_e32 v165, v165, v161
	v_bfe_u32 v161, v161, 3, 4
	v_and_b32_e32 v165, 7, v165
	s_delay_alu instid0(VALU_DEP_2) | instskip(SKIP_1) | instid1(VALU_DEP_1)
	v_cmp_eq_u32_e32 vcc_lo, 0, v161
	v_dual_cndmask_b32 v161, v161, v164 :: v_dual_lshlrev_b32 v162, 24, v162
	v_dual_cndmask_b32 v163, v163, v165 :: v_dual_and_b32 v162, 0x80000000, v162
	s_delay_alu instid0(VALU_DEP_2) | instskip(NEXT) | instid1(VALU_DEP_2)
	v_lshl_add_u32 v161, v161, 23, 0x3b800000
	v_lshlrev_b32_e32 v163, 20, v163
	s_delay_alu instid0(VALU_DEP_1)
	v_or3_b32 v161, v162, v161, v163
.LBB0_400:                              ;   in Loop: Header=BB0_266 Depth=3
	s_or_b32 exec_lo, exec_lo, s9
	v_and_b32_e32 v163, 0xff, v151
	s_mov_b32 s8, 0
	s_mov_b32 s20, exec_lo
                                        ; implicit-def: $sgpr9
	s_delay_alu instid0(VALU_DEP_1)
	v_cmpx_lt_i16_e64 0x7f, v163
	s_xor_b32 s20, exec_lo, s20
	s_cbranch_execnz .LBB0_550
; %bb.401:                              ;   in Loop: Header=BB0_266 Depth=3
	s_or_saveexec_b32 s20, s20
	v_mov_b32_e32 v162, s9
	s_xor_b32 exec_lo, exec_lo, s20
	s_cbranch_execnz .LBB0_553
.LBB0_402:                              ;   in Loop: Header=BB0_266 Depth=3
	s_or_b32 exec_lo, exec_lo, s20
	s_and_saveexec_b32 s9, s8
	s_cbranch_execz .LBB0_404
.LBB0_403:                              ;   in Loop: Header=BB0_266 Depth=3
	v_and_b32_e32 v162, 7, v151
	v_bfe_u32 v165, v151, 3, 4
	s_delay_alu instid0(VALU_DEP_2) | instskip(NEXT) | instid1(VALU_DEP_2)
	v_clz_i32_u32_e32 v163, v162
	v_cmp_eq_u32_e32 vcc_lo, 0, v165
	s_delay_alu instid0(VALU_DEP_2) | instskip(NEXT) | instid1(VALU_DEP_1)
	v_min_u32_e32 v163, 32, v163
	v_subrev_nc_u32_e32 v164, 28, v163
	v_sub_nc_u32_e32 v163, 29, v163
	s_delay_alu instid0(VALU_DEP_2) | instskip(NEXT) | instid1(VALU_DEP_1)
	v_lshlrev_b32_e32 v164, v164, v151
	v_dual_cndmask_b32 v163, v165, v163 :: v_dual_and_b32 v164, 7, v164
	v_lshlrev_b32_e32 v151, 24, v151
	s_delay_alu instid0(VALU_DEP_2) | instskip(NEXT) | instid1(VALU_DEP_2)
	v_lshl_add_u32 v163, v163, 23, 0x3b800000
	v_dual_cndmask_b32 v162, v162, v164 :: v_dual_and_b32 v151, 0x80000000, v151
	s_delay_alu instid0(VALU_DEP_1) | instskip(NEXT) | instid1(VALU_DEP_1)
	v_lshlrev_b32_e32 v162, 20, v162
	v_or3_b32 v162, v151, v163, v162
.LBB0_404:                              ;   in Loop: Header=BB0_266 Depth=3
	s_or_b32 exec_lo, exec_lo, s9
	s_delay_alu instid0(VALU_DEP_1) | instskip(NEXT) | instid1(VALU_DEP_1)
	v_add_f32_e32 v161, v161, v162
	v_and_b32_e32 v151, 0x7f800000, v161
	s_delay_alu instid0(VALU_DEP_1)
	v_cmp_ne_u32_e32 vcc_lo, 0x7f800000, v151
	v_mov_b32_e32 v151, 0x80
	s_and_saveexec_b32 s9, vcc_lo
	s_cbranch_execz .LBB0_412
; %bb.405:                              ;   in Loop: Header=BB0_266 Depth=3
	v_mov_b32_e32 v151, 0
	s_mov_b32 s20, exec_lo
	v_cmpx_ne_u32_e32 0, v161
	s_cbranch_execz .LBB0_411
; %bb.406:                              ;   in Loop: Header=BB0_266 Depth=3
	v_bfe_u32 v151, v161, 23, 8
	s_delay_alu instid0(VALU_DEP_1) | instskip(SKIP_1) | instid1(VALU_DEP_2)
	v_sub_nc_u32_e32 v163, 0x78, v151
	v_cmp_gt_u32_e32 vcc_lo, 0x79, v151
	v_dual_cndmask_b32 v163, 0, v163 :: v_dual_and_b32 v162, 0x7fffff, v161
	s_delay_alu instid0(VALU_DEP_1) | instskip(SKIP_2) | instid1(VALU_DEP_4)
	v_or_b32_e32 v164, 0x800000, v162
	v_cmp_eq_u32_e32 vcc_lo, 0, v151
	v_add_nc_u32_e32 v151, 0xffffff89, v151
	v_cndmask_b32_e64 v163, v163, 0x77, vcc_lo
	s_delay_alu instid0(VALU_DEP_4) | instskip(NEXT) | instid1(VALU_DEP_3)
	v_cndmask_b32_e32 v162, v164, v162, vcc_lo
	v_cndmask_b32_e64 v151, v151, 0xffffff8a, vcc_lo
	s_delay_alu instid0(VALU_DEP_3) | instskip(NEXT) | instid1(VALU_DEP_3)
	v_lshl_add_u32 v164, 0x100000, v163, -1
	v_lshrrev_b32_e32 v165, v163, v162
	v_lshlrev_b32_e64 v167, v163, 0x80000
	s_delay_alu instid0(VALU_DEP_4) | instskip(NEXT) | instid1(VALU_DEP_4)
	v_add_nc_u32_e32 v163, v163, v151
	v_and_b32_e32 v162, v164, v162
	s_delay_alu instid0(VALU_DEP_4) | instskip(NEXT) | instid1(VALU_DEP_2)
	v_bfe_u32 v166, v165, 20, 1
	v_cmp_eq_u32_e64 s8, v162, v167
	s_delay_alu instid0(VALU_DEP_2) | instskip(NEXT) | instid1(VALU_DEP_1)
	v_add_nc_u32_e32 v164, -1, v166
	v_cndmask_b32_e64 v162, 0, v164, s8
	v_lshrrev_b32_e32 v164, 23, v165
	s_mov_b32 s8, exec_lo
	s_delay_alu instid0(VALU_DEP_2) | instskip(NEXT) | instid1(VALU_DEP_2)
	v_add_nc_u32_e32 v162, v162, v165
	v_xor_b32_e32 v164, 1, v164
	s_delay_alu instid0(VALU_DEP_2) | instskip(NEXT) | instid1(VALU_DEP_1)
	v_and_b32_e32 v151, 0xfffff, v162
	v_add_nc_u32_e32 v162, v151, v165
                                        ; implicit-def: $vgpr151
	s_delay_alu instid0(VALU_DEP_3)
	v_cmpx_ne_u32_e64 v163, v164
	s_xor_b32 s8, exec_lo, s8
; %bb.407:                              ;   in Loop: Header=BB0_266 Depth=3
	s_delay_alu instid0(VALU_DEP_2) | instskip(SKIP_2) | instid1(VALU_DEP_2)
	v_cmp_lt_u32_e32 vcc_lo, 0xffffff, v162
	v_sub_nc_u32_e32 v151, v163, v164
	v_cndmask_b32_e64 v163, 0, 1, vcc_lo
	v_add_co_ci_u32_e32 v151, vcc_lo, 0, v151, vcc_lo
	s_delay_alu instid0(VALU_DEP_2)
	v_lshrrev_b32_e32 v162, v163, v162
; %bb.408:                              ;   in Loop: Header=BB0_266 Depth=3
	s_and_not1_saveexec_b32 s8, s8
; %bb.409:                              ;   in Loop: Header=BB0_266 Depth=3
	s_delay_alu instid0(VALU_DEP_1)
	v_bfe_u32 v151, v162, 23, 1
; %bb.410:                              ;   in Loop: Header=BB0_266 Depth=3
	s_or_b32 exec_lo, exec_lo, s8
	v_lshrrev_b32_e32 v162, 20, v162
	s_delay_alu instid0(VALU_DEP_2) | instskip(SKIP_2) | instid1(VALU_DEP_2)
	v_cmp_gt_i32_e32 vcc_lo, 16, v151
	v_lshrrev_b32_e32 v161, 24, v161
	v_min_i32_e32 v163, 15, v151
	v_dual_cndmask_b32 v162, 7, v162 :: v_dual_and_b32 v161, 0x80, v161
	s_delay_alu instid0(VALU_DEP_2) | instskip(NEXT) | instid1(VALU_DEP_2)
	v_lshlrev_b32_e32 v163, 3, v163
	v_or_b32_e32 v151, v151, v162
	s_delay_alu instid0(VALU_DEP_1) | instskip(SKIP_1) | instid1(VALU_DEP_1)
	v_cmp_ne_u32_e32 vcc_lo, 0, v151
	v_and_b32_e32 v164, 7, v162
	v_or3_b32 v161, v163, v161, v164
	s_delay_alu instid0(VALU_DEP_1)
	v_cndmask_b32_e32 v151, 0, v161, vcc_lo
.LBB0_411:                              ;   in Loop: Header=BB0_266 Depth=3
	s_or_b32 exec_lo, exec_lo, s20
.LBB0_412:                              ;   in Loop: Header=BB0_266 Depth=3
	s_delay_alu instid0(SALU_CYCLE_1) | instskip(SKIP_3) | instid1(VALU_DEP_1)
	s_or_b32 exec_lo, exec_lo, s9
	v_lshrrev_b32_e32 v162, 16, v19
	s_mov_b32 s8, 0
	s_mov_b32 s20, exec_lo
                                        ; implicit-def: $sgpr9
	v_and_b32_e32 v163, 0xff, v162
	s_delay_alu instid0(VALU_DEP_1)
	v_cmpx_lt_i16_e64 0x7f, v163
	s_xor_b32 s20, exec_lo, s20
	s_cbranch_execnz .LBB0_554
; %bb.413:                              ;   in Loop: Header=BB0_266 Depth=3
	s_or_saveexec_b32 s20, s20
	v_mov_b32_e32 v161, s9
	s_xor_b32 exec_lo, exec_lo, s20
	s_cbranch_execnz .LBB0_557
.LBB0_414:                              ;   in Loop: Header=BB0_266 Depth=3
	s_or_b32 exec_lo, exec_lo, s20
	s_and_saveexec_b32 s9, s8
	s_cbranch_execz .LBB0_416
.LBB0_415:                              ;   in Loop: Header=BB0_266 Depth=3
	v_bfe_u32 v161, v19, 16, 3
	v_lshlrev_b32_e32 v165, 8, v19
	s_delay_alu instid0(VALU_DEP_2) | instskip(NEXT) | instid1(VALU_DEP_1)
	v_clz_i32_u32_e32 v163, v161
	v_min_u32_e32 v163, 32, v163
	s_delay_alu instid0(VALU_DEP_1) | instskip(SKIP_1) | instid1(VALU_DEP_2)
	v_subrev_nc_u32_e32 v164, 28, v163
	v_sub_nc_u32_e32 v163, 29, v163
	v_lshlrev_b32_e32 v162, v164, v162
	v_bfe_u32 v164, v19, 19, 4
	s_delay_alu instid0(VALU_DEP_1) | instskip(NEXT) | instid1(VALU_DEP_3)
	v_cmp_eq_u32_e32 vcc_lo, 0, v164
	v_dual_cndmask_b32 v163, v164, v163 :: v_dual_and_b32 v162, 7, v162
	s_delay_alu instid0(VALU_DEP_1) | instskip(NEXT) | instid1(VALU_DEP_2)
	v_dual_cndmask_b32 v161, v161, v162 :: v_dual_and_b32 v162, 0x80000000, v165
	v_lshl_add_u32 v163, v163, 23, 0x3b800000
	s_delay_alu instid0(VALU_DEP_2) | instskip(NEXT) | instid1(VALU_DEP_1)
	v_lshlrev_b32_e32 v161, 20, v161
	v_or3_b32 v161, v162, v163, v161
.LBB0_416:                              ;   in Loop: Header=BB0_266 Depth=3
	s_or_b32 exec_lo, exec_lo, s9
	v_and_b32_e32 v163, 0xff, v97
	s_mov_b32 s8, 0
	s_mov_b32 s20, exec_lo
                                        ; implicit-def: $sgpr9
	s_delay_alu instid0(VALU_DEP_1)
	v_cmpx_lt_i16_e64 0x7f, v163
	s_xor_b32 s20, exec_lo, s20
	s_cbranch_execnz .LBB0_558
; %bb.417:                              ;   in Loop: Header=BB0_266 Depth=3
	s_or_saveexec_b32 s20, s20
	v_mov_b32_e32 v162, s9
	s_xor_b32 exec_lo, exec_lo, s20
	s_cbranch_execnz .LBB0_561
.LBB0_418:                              ;   in Loop: Header=BB0_266 Depth=3
	s_or_b32 exec_lo, exec_lo, s20
	s_and_saveexec_b32 s9, s8
	s_cbranch_execz .LBB0_420
.LBB0_419:                              ;   in Loop: Header=BB0_266 Depth=3
	v_bfe_u32 v165, v97, 3, 4
	s_delay_alu instid0(VALU_DEP_1) | instskip(SKIP_1) | instid1(VALU_DEP_1)
	v_cmp_eq_u32_e32 vcc_lo, 0, v165
	v_and_b32_e32 v162, 7, v97
	v_clz_i32_u32_e32 v163, v162
	s_delay_alu instid0(VALU_DEP_1) | instskip(NEXT) | instid1(VALU_DEP_1)
	v_min_u32_e32 v163, 32, v163
	v_subrev_nc_u32_e32 v164, 28, v163
	v_sub_nc_u32_e32 v163, 29, v163
	s_delay_alu instid0(VALU_DEP_1) | instskip(NEXT) | instid1(VALU_DEP_1)
	v_dual_cndmask_b32 v163, v165, v163 :: v_dual_lshlrev_b32 v164, v164, v97
	v_and_b32_e32 v164, 7, v164
	v_lshlrev_b32_e32 v97, 24, v97
	s_delay_alu instid0(VALU_DEP_3) | instskip(NEXT) | instid1(VALU_DEP_2)
	v_lshl_add_u32 v163, v163, 23, 0x3b800000
	v_dual_cndmask_b32 v162, v162, v164 :: v_dual_and_b32 v97, 0x80000000, v97
	s_delay_alu instid0(VALU_DEP_1) | instskip(NEXT) | instid1(VALU_DEP_1)
	v_lshlrev_b32_e32 v162, 20, v162
	v_or3_b32 v162, v97, v163, v162
.LBB0_420:                              ;   in Loop: Header=BB0_266 Depth=3
	s_or_b32 exec_lo, exec_lo, s9
	s_delay_alu instid0(VALU_DEP_1) | instskip(NEXT) | instid1(VALU_DEP_1)
	v_add_f32_e32 v161, v161, v162
	v_and_b32_e32 v97, 0x7f800000, v161
	s_delay_alu instid0(VALU_DEP_1)
	v_cmp_ne_u32_e32 vcc_lo, 0x7f800000, v97
	v_mov_b32_e32 v97, 0x80
	s_and_saveexec_b32 s9, vcc_lo
	s_cbranch_execz .LBB0_428
; %bb.421:                              ;   in Loop: Header=BB0_266 Depth=3
	v_mov_b32_e32 v97, 0
	s_mov_b32 s20, exec_lo
	v_cmpx_ne_u32_e32 0, v161
	s_cbranch_execz .LBB0_427
; %bb.422:                              ;   in Loop: Header=BB0_266 Depth=3
	v_bfe_u32 v97, v161, 23, 8
	s_delay_alu instid0(VALU_DEP_1) | instskip(SKIP_1) | instid1(VALU_DEP_2)
	v_sub_nc_u32_e32 v163, 0x78, v97
	v_cmp_gt_u32_e32 vcc_lo, 0x79, v97
	v_dual_cndmask_b32 v163, 0, v163 :: v_dual_and_b32 v162, 0x7fffff, v161
	s_delay_alu instid0(VALU_DEP_1) | instskip(SKIP_2) | instid1(VALU_DEP_4)
	v_or_b32_e32 v164, 0x800000, v162
	v_cmp_eq_u32_e32 vcc_lo, 0, v97
	v_add_nc_u32_e32 v97, 0xffffff89, v97
	v_cndmask_b32_e64 v163, v163, 0x77, vcc_lo
	s_delay_alu instid0(VALU_DEP_4) | instskip(NEXT) | instid1(VALU_DEP_3)
	v_cndmask_b32_e32 v162, v164, v162, vcc_lo
	v_cndmask_b32_e64 v97, v97, 0xffffff8a, vcc_lo
	s_delay_alu instid0(VALU_DEP_3) | instskip(NEXT) | instid1(VALU_DEP_3)
	v_lshl_add_u32 v164, 0x100000, v163, -1
	v_lshrrev_b32_e32 v165, v163, v162
	v_lshlrev_b32_e64 v167, v163, 0x80000
	s_delay_alu instid0(VALU_DEP_4) | instskip(NEXT) | instid1(VALU_DEP_4)
	v_add_nc_u32_e32 v163, v163, v97
	v_and_b32_e32 v162, v164, v162
	s_delay_alu instid0(VALU_DEP_4) | instskip(NEXT) | instid1(VALU_DEP_2)
	v_bfe_u32 v166, v165, 20, 1
	v_cmp_eq_u32_e64 s8, v162, v167
	s_delay_alu instid0(VALU_DEP_2) | instskip(NEXT) | instid1(VALU_DEP_1)
	v_add_nc_u32_e32 v164, -1, v166
	v_cndmask_b32_e64 v162, 0, v164, s8
	v_lshrrev_b32_e32 v164, 23, v165
	s_mov_b32 s8, exec_lo
	s_delay_alu instid0(VALU_DEP_2) | instskip(NEXT) | instid1(VALU_DEP_2)
	v_add_nc_u32_e32 v162, v162, v165
	v_xor_b32_e32 v164, 1, v164
	s_delay_alu instid0(VALU_DEP_2) | instskip(NEXT) | instid1(VALU_DEP_1)
	v_and_b32_e32 v97, 0xfffff, v162
	v_add_nc_u32_e32 v162, v97, v165
                                        ; implicit-def: $vgpr97
	s_delay_alu instid0(VALU_DEP_3)
	v_cmpx_ne_u32_e64 v163, v164
	s_xor_b32 s8, exec_lo, s8
; %bb.423:                              ;   in Loop: Header=BB0_266 Depth=3
	s_delay_alu instid0(VALU_DEP_2) | instskip(SKIP_2) | instid1(VALU_DEP_2)
	v_cmp_lt_u32_e32 vcc_lo, 0xffffff, v162
	v_sub_nc_u32_e32 v97, v163, v164
	v_cndmask_b32_e64 v163, 0, 1, vcc_lo
	v_add_co_ci_u32_e32 v97, vcc_lo, 0, v97, vcc_lo
	s_delay_alu instid0(VALU_DEP_2)
	v_lshrrev_b32_e32 v162, v163, v162
; %bb.424:                              ;   in Loop: Header=BB0_266 Depth=3
	s_and_not1_saveexec_b32 s8, s8
; %bb.425:                              ;   in Loop: Header=BB0_266 Depth=3
	s_delay_alu instid0(VALU_DEP_1)
	v_bfe_u32 v97, v162, 23, 1
; %bb.426:                              ;   in Loop: Header=BB0_266 Depth=3
	s_or_b32 exec_lo, exec_lo, s8
	v_lshrrev_b32_e32 v162, 20, v162
	s_delay_alu instid0(VALU_DEP_2) | instskip(SKIP_2) | instid1(VALU_DEP_2)
	v_cmp_gt_i32_e32 vcc_lo, 16, v97
	v_lshrrev_b32_e32 v161, 24, v161
	v_min_i32_e32 v163, 15, v97
	v_dual_cndmask_b32 v162, 7, v162 :: v_dual_and_b32 v161, 0x80, v161
	s_delay_alu instid0(VALU_DEP_2) | instskip(NEXT) | instid1(VALU_DEP_2)
	v_lshlrev_b32_e32 v163, 3, v163
	v_or_b32_e32 v97, v97, v162
	s_delay_alu instid0(VALU_DEP_1) | instskip(SKIP_1) | instid1(VALU_DEP_1)
	v_cmp_ne_u32_e32 vcc_lo, 0, v97
	v_and_b32_e32 v164, 7, v162
	v_or3_b32 v161, v163, v161, v164
	s_delay_alu instid0(VALU_DEP_1)
	v_cndmask_b32_e32 v97, 0, v161, vcc_lo
.LBB0_427:                              ;   in Loop: Header=BB0_266 Depth=3
	s_or_b32 exec_lo, exec_lo, s20
.LBB0_428:                              ;   in Loop: Header=BB0_266 Depth=3
	s_delay_alu instid0(SALU_CYCLE_1) | instskip(SKIP_3) | instid1(VALU_DEP_1)
	s_or_b32 exec_lo, exec_lo, s9
	v_lshrrev_b32_e32 v162, 24, v19
	s_mov_b32 s8, 0
	s_mov_b32 s20, exec_lo
                                        ; implicit-def: $sgpr9
	v_cmpx_lt_i16_e64 0x7f, v162
	s_xor_b32 s20, exec_lo, s20
	s_cbranch_execnz .LBB0_562
; %bb.429:                              ;   in Loop: Header=BB0_266 Depth=3
	s_or_saveexec_b32 s20, s20
	v_mov_b32_e32 v161, s9
	s_xor_b32 exec_lo, exec_lo, s20
	s_cbranch_execnz .LBB0_565
.LBB0_430:                              ;   in Loop: Header=BB0_266 Depth=3
	s_or_b32 exec_lo, exec_lo, s20
	s_and_saveexec_b32 s9, s8
	s_cbranch_execz .LBB0_432
.LBB0_431:                              ;   in Loop: Header=BB0_266 Depth=3
	v_bfe_u32 v161, v19, 24, 3
	s_delay_alu instid0(VALU_DEP_1) | instskip(NEXT) | instid1(VALU_DEP_1)
	v_clz_i32_u32_e32 v163, v161
	v_min_u32_e32 v163, 32, v163
	s_delay_alu instid0(VALU_DEP_1) | instskip(SKIP_1) | instid1(VALU_DEP_2)
	v_subrev_nc_u32_e32 v164, 28, v163
	v_sub_nc_u32_e32 v163, 29, v163
	v_lshlrev_b32_e32 v162, v164, v162
	v_bfe_u32 v164, v19, 27, 4
	v_and_b32_e32 v19, 0x80000000, v19
	s_delay_alu instid0(VALU_DEP_2) | instskip(NEXT) | instid1(VALU_DEP_4)
	v_cmp_eq_u32_e32 vcc_lo, 0, v164
	v_dual_cndmask_b32 v163, v164, v163 :: v_dual_and_b32 v162, 7, v162
	s_delay_alu instid0(VALU_DEP_1) | instskip(NEXT) | instid1(VALU_DEP_2)
	v_cndmask_b32_e32 v161, v161, v162, vcc_lo
	v_lshl_add_u32 v162, v163, 23, 0x3b800000
	s_delay_alu instid0(VALU_DEP_2) | instskip(NEXT) | instid1(VALU_DEP_1)
	v_lshlrev_b32_e32 v161, 20, v161
	v_or3_b32 v161, v19, v162, v161
.LBB0_432:                              ;   in Loop: Header=BB0_266 Depth=3
	s_or_b32 exec_lo, exec_lo, s9
	v_and_b32_e32 v19, 0xff, v96
	s_mov_b32 s8, 0
	s_mov_b32 s20, exec_lo
                                        ; implicit-def: $sgpr9
	s_delay_alu instid0(VALU_DEP_1)
	v_cmpx_lt_i16_e32 0x7f, v19
	s_xor_b32 s20, exec_lo, s20
	s_cbranch_execnz .LBB0_566
; %bb.433:                              ;   in Loop: Header=BB0_266 Depth=3
	s_or_saveexec_b32 s20, s20
	v_mov_b32_e32 v162, s9
	s_xor_b32 exec_lo, exec_lo, s20
	s_cbranch_execnz .LBB0_569
.LBB0_434:                              ;   in Loop: Header=BB0_266 Depth=3
	s_or_b32 exec_lo, exec_lo, s20
	s_and_saveexec_b32 s9, s8
	s_cbranch_execz .LBB0_436
.LBB0_435:                              ;   in Loop: Header=BB0_266 Depth=3
	v_lshlrev_b32_e32 v96, 8, v96
	s_delay_alu instid0(VALU_DEP_1) | instskip(SKIP_1) | instid1(VALU_DEP_2)
	v_and_b32_e32 v162, 0xff00, v96
	v_bfe_u32 v96, v96, 11, 4
	v_bfe_u32 v163, v162, 8, 3
	s_delay_alu instid0(VALU_DEP_2) | instskip(SKIP_1) | instid1(VALU_DEP_3)
	v_cmp_eq_u32_e32 vcc_lo, 0, v96
	v_lshlrev_b32_e32 v162, 16, v162
	v_clz_i32_u32_e32 v164, v163
	s_delay_alu instid0(VALU_DEP_2) | instskip(NEXT) | instid1(VALU_DEP_2)
	v_and_b32_e32 v162, 0x80000000, v162
	v_min_u32_e32 v164, 32, v164
	s_delay_alu instid0(VALU_DEP_1) | instskip(SKIP_1) | instid1(VALU_DEP_1)
	v_subrev_nc_u32_e32 v165, 28, v164
	v_sub_nc_u32_e32 v164, 29, v164
	v_dual_cndmask_b32 v96, v96, v164 :: v_dual_lshlrev_b32 v19, v165, v19
	s_delay_alu instid0(VALU_DEP_1) | instskip(NEXT) | instid1(VALU_DEP_2)
	v_and_b32_e32 v19, 7, v19
	v_lshl_add_u32 v96, v96, 23, 0x3b800000
	s_delay_alu instid0(VALU_DEP_2) | instskip(NEXT) | instid1(VALU_DEP_1)
	v_cndmask_b32_e32 v19, v163, v19, vcc_lo
	v_lshlrev_b32_e32 v19, 20, v19
	s_delay_alu instid0(VALU_DEP_1)
	v_or3_b32 v162, v162, v96, v19
.LBB0_436:                              ;   in Loop: Header=BB0_266 Depth=3
	s_or_b32 exec_lo, exec_lo, s9
	s_delay_alu instid0(VALU_DEP_1) | instskip(NEXT) | instid1(VALU_DEP_1)
	v_add_f32_e32 v96, v161, v162
	v_and_b32_e32 v19, 0x7f800000, v96
	s_delay_alu instid0(VALU_DEP_1)
	v_cmp_ne_u32_e32 vcc_lo, 0x7f800000, v19
	v_mov_b32_e32 v19, 0x80
	s_and_saveexec_b32 s9, vcc_lo
	s_cbranch_execz .LBB0_444
; %bb.437:                              ;   in Loop: Header=BB0_266 Depth=3
	v_mov_b32_e32 v19, 0
	s_mov_b32 s20, exec_lo
	v_cmpx_ne_u32_e32 0, v96
	s_cbranch_execz .LBB0_443
; %bb.438:                              ;   in Loop: Header=BB0_266 Depth=3
	v_bfe_u32 v19, v96, 23, 8
	s_delay_alu instid0(VALU_DEP_1) | instskip(SKIP_1) | instid1(VALU_DEP_2)
	v_sub_nc_u32_e32 v162, 0x78, v19
	v_cmp_gt_u32_e32 vcc_lo, 0x79, v19
	v_dual_cndmask_b32 v162, 0, v162 :: v_dual_and_b32 v161, 0x7fffff, v96
	s_delay_alu instid0(VALU_DEP_1) | instskip(SKIP_2) | instid1(VALU_DEP_4)
	v_or_b32_e32 v163, 0x800000, v161
	v_cmp_eq_u32_e32 vcc_lo, 0, v19
	v_add_nc_u32_e32 v19, 0xffffff89, v19
	v_cndmask_b32_e64 v162, v162, 0x77, vcc_lo
	s_delay_alu instid0(VALU_DEP_2) | instskip(SKIP_1) | instid1(VALU_DEP_3)
	v_cndmask_b32_e64 v19, v19, 0xffffff8a, vcc_lo
	v_cndmask_b32_e32 v161, v163, v161, vcc_lo
	v_lshl_add_u32 v163, 0x100000, v162, -1
	v_lshlrev_b32_e64 v166, v162, 0x80000
	s_delay_alu instid0(VALU_DEP_3) | instskip(SKIP_1) | instid1(VALU_DEP_4)
	v_lshrrev_b32_e32 v164, v162, v161
	v_add_nc_u32_e32 v162, v162, v19
	v_and_b32_e32 v161, v163, v161
	s_delay_alu instid0(VALU_DEP_3) | instskip(NEXT) | instid1(VALU_DEP_2)
	v_bfe_u32 v165, v164, 20, 1
	v_cmp_eq_u32_e64 s8, v161, v166
	s_delay_alu instid0(VALU_DEP_2) | instskip(NEXT) | instid1(VALU_DEP_1)
	v_add_nc_u32_e32 v163, -1, v165
	v_cndmask_b32_e64 v161, 0, v163, s8
	v_lshrrev_b32_e32 v163, 23, v164
	s_mov_b32 s8, exec_lo
	s_delay_alu instid0(VALU_DEP_2) | instskip(NEXT) | instid1(VALU_DEP_2)
	v_add_nc_u32_e32 v161, v161, v164
	v_xor_b32_e32 v163, 1, v163
	s_delay_alu instid0(VALU_DEP_2) | instskip(NEXT) | instid1(VALU_DEP_1)
	v_and_b32_e32 v19, 0xfffff, v161
	v_add_nc_u32_e32 v161, v19, v164
                                        ; implicit-def: $vgpr19
	s_delay_alu instid0(VALU_DEP_3)
	v_cmpx_ne_u32_e64 v162, v163
	s_xor_b32 s8, exec_lo, s8
; %bb.439:                              ;   in Loop: Header=BB0_266 Depth=3
	s_delay_alu instid0(VALU_DEP_2) | instskip(SKIP_2) | instid1(VALU_DEP_2)
	v_cmp_lt_u32_e32 vcc_lo, 0xffffff, v161
	v_sub_nc_u32_e32 v19, v162, v163
	v_cndmask_b32_e64 v162, 0, 1, vcc_lo
	v_add_co_ci_u32_e32 v19, vcc_lo, 0, v19, vcc_lo
	s_delay_alu instid0(VALU_DEP_2)
	v_lshrrev_b32_e32 v161, v162, v161
; %bb.440:                              ;   in Loop: Header=BB0_266 Depth=3
	s_and_not1_saveexec_b32 s8, s8
; %bb.441:                              ;   in Loop: Header=BB0_266 Depth=3
	s_delay_alu instid0(VALU_DEP_1)
	v_bfe_u32 v19, v161, 23, 1
; %bb.442:                              ;   in Loop: Header=BB0_266 Depth=3
	s_or_b32 exec_lo, exec_lo, s8
	v_lshrrev_b32_e32 v161, 20, v161
	s_delay_alu instid0(VALU_DEP_2) | instskip(SKIP_2) | instid1(VALU_DEP_2)
	v_cmp_gt_i32_e32 vcc_lo, 16, v19
	v_lshrrev_b32_e32 v96, 24, v96
	v_min_i32_e32 v162, 15, v19
	v_dual_cndmask_b32 v161, 7, v161 :: v_dual_and_b32 v96, 0x80, v96
	s_delay_alu instid0(VALU_DEP_1) | instskip(SKIP_1) | instid1(VALU_DEP_2)
	v_or_b32_e32 v19, v19, v161
	v_and_b32_e32 v163, 7, v161
	v_cmp_ne_u32_e32 vcc_lo, 0, v19
	v_lshlrev_b32_e32 v162, 3, v162
	s_delay_alu instid0(VALU_DEP_1) | instskip(NEXT) | instid1(VALU_DEP_1)
	v_or3_b32 v96, v162, v96, v163
	v_cndmask_b32_e32 v19, 0, v96, vcc_lo
.LBB0_443:                              ;   in Loop: Header=BB0_266 Depth=3
	s_or_b32 exec_lo, exec_lo, s20
.LBB0_444:                              ;   in Loop: Header=BB0_266 Depth=3
	s_delay_alu instid0(SALU_CYCLE_1) | instskip(SKIP_3) | instid1(VALU_DEP_1)
	s_or_b32 exec_lo, exec_lo, s9
	v_and_b32_e32 v96, 0xff, v21
	s_mov_b32 s8, 0
	s_mov_b32 s20, exec_lo
                                        ; implicit-def: $sgpr9
	v_cmpx_lt_i16_e32 0x7f, v96
	s_xor_b32 s20, exec_lo, s20
	s_cbranch_execnz .LBB0_570
; %bb.445:                              ;   in Loop: Header=BB0_266 Depth=3
	s_or_saveexec_b32 s20, s20
	v_mov_b32_e32 v162, s9
	s_xor_b32 exec_lo, exec_lo, s20
	s_cbranch_execnz .LBB0_573
.LBB0_446:                              ;   in Loop: Header=BB0_266 Depth=3
	s_or_b32 exec_lo, exec_lo, s20
	s_and_saveexec_b32 s9, s8
	s_cbranch_execz .LBB0_448
.LBB0_447:                              ;   in Loop: Header=BB0_266 Depth=3
	v_and_b32_e32 v96, 7, v21
	v_bfe_u32 v163, v21, 3, 4
	v_lshlrev_b32_e32 v164, 24, v21
	s_delay_alu instid0(VALU_DEP_3) | instskip(NEXT) | instid1(VALU_DEP_3)
	v_clz_i32_u32_e32 v161, v96
	v_cmp_eq_u32_e32 vcc_lo, 0, v163
	s_delay_alu instid0(VALU_DEP_2) | instskip(NEXT) | instid1(VALU_DEP_1)
	v_min_u32_e32 v161, 32, v161
	v_subrev_nc_u32_e32 v162, 28, v161
	v_sub_nc_u32_e32 v161, 29, v161
	s_delay_alu instid0(VALU_DEP_2) | instskip(NEXT) | instid1(VALU_DEP_1)
	v_lshlrev_b32_e32 v162, v162, v21
	v_dual_cndmask_b32 v161, v163, v161 :: v_dual_and_b32 v162, 7, v162
	s_delay_alu instid0(VALU_DEP_1) | instskip(NEXT) | instid1(VALU_DEP_2)
	v_lshl_add_u32 v161, v161, 23, 0x3b800000
	v_cndmask_b32_e32 v96, v96, v162, vcc_lo
	v_and_b32_e32 v162, 0x80000000, v164
	s_delay_alu instid0(VALU_DEP_2) | instskip(NEXT) | instid1(VALU_DEP_1)
	v_lshlrev_b32_e32 v96, 20, v96
	v_or3_b32 v162, v162, v161, v96
.LBB0_448:                              ;   in Loop: Header=BB0_266 Depth=3
	s_or_b32 exec_lo, exec_lo, s9
	v_or_b32_e32 v96, v160, v22
	v_mov_b32_e32 v161, v21
	s_mov_b32 s8, 0
	s_mov_b32 s20, exec_lo
                                        ; implicit-def: $sgpr9
	s_delay_alu instid0(VALU_DEP_2) | instskip(NEXT) | instid1(VALU_DEP_1)
	v_and_b32_e32 v160, 0xff, v96
	v_cmpx_lt_i16_e64 0x7f, v160
	s_xor_b32 s20, exec_lo, s20
	s_cbranch_execnz .LBB0_574
; %bb.449:                              ;   in Loop: Header=BB0_266 Depth=3
	s_or_saveexec_b32 s20, s20
	v_mov_b32_e32 v22, s9
	s_xor_b32 exec_lo, exec_lo, s20
	s_cbranch_execnz .LBB0_577
.LBB0_450:                              ;   in Loop: Header=BB0_266 Depth=3
	s_or_b32 exec_lo, exec_lo, s20
	s_and_saveexec_b32 s9, s8
	s_cbranch_execz .LBB0_452
.LBB0_451:                              ;   in Loop: Header=BB0_266 Depth=3
	v_and_b32_e32 v22, 7, v96
	v_bfe_u32 v164, v96, 3, 4
	s_delay_alu instid0(VALU_DEP_2) | instskip(NEXT) | instid1(VALU_DEP_2)
	v_clz_i32_u32_e32 v160, v22
	v_cmp_eq_u32_e32 vcc_lo, 0, v164
	s_delay_alu instid0(VALU_DEP_2) | instskip(NEXT) | instid1(VALU_DEP_1)
	v_min_u32_e32 v160, 32, v160
	v_subrev_nc_u32_e32 v163, 28, v160
	v_sub_nc_u32_e32 v160, 29, v160
	s_delay_alu instid0(VALU_DEP_2) | instskip(NEXT) | instid1(VALU_DEP_1)
	v_lshlrev_b32_e32 v163, v163, v96
	v_dual_cndmask_b32 v160, v164, v160 :: v_dual_and_b32 v163, 7, v163
	v_lshlrev_b32_e32 v165, 24, v96
	s_delay_alu instid0(VALU_DEP_2) | instskip(NEXT) | instid1(VALU_DEP_2)
	v_lshl_add_u32 v160, v160, 23, 0x3b800000
	v_dual_cndmask_b32 v22, v22, v163 :: v_dual_and_b32 v163, 0x80000000, v165
	s_delay_alu instid0(VALU_DEP_1) | instskip(NEXT) | instid1(VALU_DEP_1)
	v_lshlrev_b32_e32 v22, 20, v22
	v_or3_b32 v22, v163, v160, v22
.LBB0_452:                              ;   in Loop: Header=BB0_266 Depth=3
	s_or_b32 exec_lo, exec_lo, s9
	s_delay_alu instid0(VALU_DEP_1) | instskip(NEXT) | instid1(VALU_DEP_1)
	v_add_f32_e32 v160, v162, v22
	v_and_b32_e32 v22, 0x7f800000, v160
	s_delay_alu instid0(VALU_DEP_1)
	v_cmp_ne_u32_e32 vcc_lo, 0x7f800000, v22
	v_mov_b32_e32 v22, 0x80
	s_and_saveexec_b32 s9, vcc_lo
	s_cbranch_execz .LBB0_460
; %bb.453:                              ;   in Loop: Header=BB0_266 Depth=3
	v_mov_b32_e32 v22, 0
	s_mov_b32 s20, exec_lo
	v_cmpx_ne_u32_e32 0, v160
	s_cbranch_execz .LBB0_459
; %bb.454:                              ;   in Loop: Header=BB0_266 Depth=3
	v_bfe_u32 v22, v160, 23, 8
	s_delay_alu instid0(VALU_DEP_1) | instskip(SKIP_1) | instid1(VALU_DEP_2)
	v_sub_nc_u32_e32 v163, 0x78, v22
	v_cmp_gt_u32_e32 vcc_lo, 0x79, v22
	v_dual_cndmask_b32 v163, 0, v163 :: v_dual_and_b32 v162, 0x7fffff, v160
	s_delay_alu instid0(VALU_DEP_1) | instskip(SKIP_2) | instid1(VALU_DEP_4)
	v_or_b32_e32 v164, 0x800000, v162
	v_cmp_eq_u32_e32 vcc_lo, 0, v22
	v_add_nc_u32_e32 v22, 0xffffff89, v22
	v_cndmask_b32_e64 v163, v163, 0x77, vcc_lo
	s_delay_alu instid0(VALU_DEP_4) | instskip(NEXT) | instid1(VALU_DEP_3)
	v_cndmask_b32_e32 v162, v164, v162, vcc_lo
	v_cndmask_b32_e64 v22, v22, 0xffffff8a, vcc_lo
	s_delay_alu instid0(VALU_DEP_3) | instskip(NEXT) | instid1(VALU_DEP_3)
	v_lshl_add_u32 v164, 0x100000, v163, -1
	v_lshrrev_b32_e32 v165, v163, v162
	v_lshlrev_b32_e64 v167, v163, 0x80000
	s_delay_alu instid0(VALU_DEP_4) | instskip(NEXT) | instid1(VALU_DEP_4)
	v_add_nc_u32_e32 v163, v163, v22
	v_and_b32_e32 v162, v164, v162
	s_delay_alu instid0(VALU_DEP_4) | instskip(NEXT) | instid1(VALU_DEP_2)
	v_bfe_u32 v166, v165, 20, 1
	v_cmp_eq_u32_e64 s8, v162, v167
	s_delay_alu instid0(VALU_DEP_2) | instskip(NEXT) | instid1(VALU_DEP_1)
	v_add_nc_u32_e32 v164, -1, v166
	v_cndmask_b32_e64 v162, 0, v164, s8
	v_lshrrev_b32_e32 v164, 23, v165
	s_mov_b32 s8, exec_lo
	s_delay_alu instid0(VALU_DEP_2) | instskip(NEXT) | instid1(VALU_DEP_2)
	v_add_nc_u32_e32 v162, v162, v165
	v_xor_b32_e32 v164, 1, v164
	s_delay_alu instid0(VALU_DEP_2) | instskip(NEXT) | instid1(VALU_DEP_1)
	v_and_b32_e32 v22, 0xfffff, v162
	v_add_nc_u32_e32 v162, v22, v165
                                        ; implicit-def: $vgpr22
	s_delay_alu instid0(VALU_DEP_3)
	v_cmpx_ne_u32_e64 v163, v164
	s_xor_b32 s8, exec_lo, s8
; %bb.455:                              ;   in Loop: Header=BB0_266 Depth=3
	s_delay_alu instid0(VALU_DEP_2) | instskip(SKIP_2) | instid1(VALU_DEP_2)
	v_cmp_lt_u32_e32 vcc_lo, 0xffffff, v162
	v_sub_nc_u32_e32 v22, v163, v164
	v_cndmask_b32_e64 v163, 0, 1, vcc_lo
	v_add_co_ci_u32_e32 v22, vcc_lo, 0, v22, vcc_lo
	s_delay_alu instid0(VALU_DEP_2)
	v_lshrrev_b32_e32 v162, v163, v162
; %bb.456:                              ;   in Loop: Header=BB0_266 Depth=3
	s_and_not1_saveexec_b32 s8, s8
; %bb.457:                              ;   in Loop: Header=BB0_266 Depth=3
	s_delay_alu instid0(VALU_DEP_1)
	v_bfe_u32 v22, v162, 23, 1
; %bb.458:                              ;   in Loop: Header=BB0_266 Depth=3
	s_or_b32 exec_lo, exec_lo, s8
	v_lshrrev_b32_e32 v162, 20, v162
	s_delay_alu instid0(VALU_DEP_2) | instskip(SKIP_2) | instid1(VALU_DEP_4)
	v_cmp_gt_i32_e32 vcc_lo, 16, v22
	v_lshrrev_b32_e32 v160, 24, v160
	v_min_i32_e32 v163, 15, v22
	v_cndmask_b32_e32 v162, 7, v162, vcc_lo
	s_delay_alu instid0(VALU_DEP_3) | instskip(NEXT) | instid1(VALU_DEP_3)
	v_and_b32_e32 v160, 0x80, v160
	v_lshlrev_b32_e32 v163, 3, v163
	s_delay_alu instid0(VALU_DEP_3) | instskip(SKIP_1) | instid1(VALU_DEP_2)
	v_and_b32_e32 v164, 7, v162
	v_or_b32_e32 v22, v22, v162
	v_or3_b32 v160, v163, v160, v164
	s_delay_alu instid0(VALU_DEP_2) | instskip(NEXT) | instid1(VALU_DEP_2)
	v_cmp_ne_u32_e32 vcc_lo, 0, v22
	v_cndmask_b32_e32 v22, 0, v160, vcc_lo
.LBB0_459:                              ;   in Loop: Header=BB0_266 Depth=3
	s_or_b32 exec_lo, exec_lo, s20
.LBB0_460:                              ;   in Loop: Header=BB0_266 Depth=3
	s_delay_alu instid0(SALU_CYCLE_1) | instskip(SKIP_3) | instid1(VALU_DEP_1)
	s_or_b32 exec_lo, exec_lo, s9
	v_lshrrev_b16 v161, 8, v161
	s_mov_b32 s8, 0
	s_mov_b32 s20, exec_lo
                                        ; implicit-def: $sgpr9
	v_cmpx_lt_i16_e64 0x7f, v161
	s_xor_b32 s20, exec_lo, s20
	s_cbranch_execnz .LBB0_578
; %bb.461:                              ;   in Loop: Header=BB0_266 Depth=3
	s_or_saveexec_b32 s20, s20
	v_mov_b32_e32 v160, s9
	s_xor_b32 exec_lo, exec_lo, s20
	s_cbranch_execnz .LBB0_581
.LBB0_462:                              ;   in Loop: Header=BB0_266 Depth=3
	s_or_b32 exec_lo, exec_lo, s20
	s_and_saveexec_b32 s9, s8
	s_cbranch_execz .LBB0_464
.LBB0_463:                              ;   in Loop: Header=BB0_266 Depth=3
	v_and_b32_e32 v160, 0xffff, v161
	s_delay_alu instid0(VALU_DEP_1) | instskip(NEXT) | instid1(VALU_DEP_1)
	v_and_b32_e32 v162, 7, v160
	v_clz_i32_u32_e32 v163, v162
	s_delay_alu instid0(VALU_DEP_1) | instskip(NEXT) | instid1(VALU_DEP_1)
	v_min_u32_e32 v163, 32, v163
	v_subrev_nc_u32_e32 v164, 28, v163
	v_sub_nc_u32_e32 v163, 29, v163
	s_delay_alu instid0(VALU_DEP_2) | instskip(SKIP_1) | instid1(VALU_DEP_2)
	v_lshlrev_b32_e32 v164, v164, v160
	v_bfe_u32 v160, v160, 3, 4
	v_and_b32_e32 v164, 7, v164
	s_delay_alu instid0(VALU_DEP_2) | instskip(SKIP_1) | instid1(VALU_DEP_1)
	v_cmp_eq_u32_e32 vcc_lo, 0, v160
	v_dual_cndmask_b32 v160, v160, v163 :: v_dual_lshlrev_b32 v161, 24, v161
	v_dual_cndmask_b32 v162, v162, v164 :: v_dual_and_b32 v161, 0x80000000, v161
	s_delay_alu instid0(VALU_DEP_2) | instskip(NEXT) | instid1(VALU_DEP_2)
	v_lshl_add_u32 v160, v160, 23, 0x3b800000
	v_lshlrev_b32_e32 v162, 20, v162
	s_delay_alu instid0(VALU_DEP_1)
	v_or3_b32 v160, v161, v160, v162
.LBB0_464:                              ;   in Loop: Header=BB0_266 Depth=3
	s_or_b32 exec_lo, exec_lo, s9
	v_lshrrev_b16 v161, 8, v96
	s_mov_b32 s8, 0
	s_mov_b32 s20, exec_lo
                                        ; implicit-def: $sgpr9
	s_delay_alu instid0(VALU_DEP_1)
	v_cmpx_lt_i16_e64 0x7f, v161
	s_xor_b32 s20, exec_lo, s20
	s_cbranch_execnz .LBB0_582
; %bb.465:                              ;   in Loop: Header=BB0_266 Depth=3
	s_or_saveexec_b32 s20, s20
	v_mov_b32_e32 v162, s9
	s_xor_b32 exec_lo, exec_lo, s20
	s_cbranch_execnz .LBB0_585
.LBB0_466:                              ;   in Loop: Header=BB0_266 Depth=3
	s_or_b32 exec_lo, exec_lo, s20
	s_and_saveexec_b32 s9, s8
	s_cbranch_execz .LBB0_468
.LBB0_467:                              ;   in Loop: Header=BB0_266 Depth=3
	v_and_b32_e32 v162, 0xffff, v161
	v_lshlrev_b32_e32 v161, 24, v161
	s_delay_alu instid0(VALU_DEP_2) | instskip(NEXT) | instid1(VALU_DEP_2)
	v_and_b32_e32 v163, 7, v162
	v_and_b32_e32 v161, 0x80000000, v161
	s_delay_alu instid0(VALU_DEP_2) | instskip(NEXT) | instid1(VALU_DEP_1)
	v_clz_i32_u32_e32 v164, v163
	v_min_u32_e32 v164, 32, v164
	s_delay_alu instid0(VALU_DEP_1) | instskip(SKIP_1) | instid1(VALU_DEP_2)
	v_subrev_nc_u32_e32 v165, 28, v164
	v_sub_nc_u32_e32 v164, 29, v164
	v_lshlrev_b32_e32 v165, v165, v162
	v_bfe_u32 v162, v162, 3, 4
	s_delay_alu instid0(VALU_DEP_2) | instskip(NEXT) | instid1(VALU_DEP_2)
	v_and_b32_e32 v165, 7, v165
	v_cmp_eq_u32_e32 vcc_lo, 0, v162
	s_delay_alu instid0(VALU_DEP_2) | instskip(NEXT) | instid1(VALU_DEP_1)
	v_dual_cndmask_b32 v162, v162, v164 :: v_dual_cndmask_b32 v163, v163, v165
	v_lshl_add_u32 v162, v162, 23, 0x3b800000
	s_delay_alu instid0(VALU_DEP_2) | instskip(NEXT) | instid1(VALU_DEP_1)
	v_lshlrev_b32_e32 v163, 20, v163
	v_or3_b32 v162, v161, v162, v163
.LBB0_468:                              ;   in Loop: Header=BB0_266 Depth=3
	s_or_b32 exec_lo, exec_lo, s9
	s_delay_alu instid0(VALU_DEP_1) | instskip(NEXT) | instid1(VALU_DEP_1)
	v_add_f32_e32 v161, v160, v162
	v_and_b32_e32 v160, 0x7f800000, v161
	s_delay_alu instid0(VALU_DEP_1)
	v_cmp_ne_u32_e32 vcc_lo, 0x7f800000, v160
	v_mov_b32_e32 v160, 0x8000
	s_and_saveexec_b32 s9, vcc_lo
	s_cbranch_execz .LBB0_476
; %bb.469:                              ;   in Loop: Header=BB0_266 Depth=3
	v_mov_b32_e32 v160, 0
	s_mov_b32 s20, exec_lo
	v_cmpx_ne_u32_e32 0, v161
	s_cbranch_execz .LBB0_475
; %bb.470:                              ;   in Loop: Header=BB0_266 Depth=3
	v_bfe_u32 v160, v161, 23, 8
	s_delay_alu instid0(VALU_DEP_1) | instskip(SKIP_1) | instid1(VALU_DEP_2)
	v_sub_nc_u32_e32 v163, 0x78, v160
	v_cmp_gt_u32_e32 vcc_lo, 0x79, v160
	v_dual_cndmask_b32 v163, 0, v163 :: v_dual_and_b32 v162, 0x7fffff, v161
	s_delay_alu instid0(VALU_DEP_1) | instskip(SKIP_2) | instid1(VALU_DEP_4)
	v_or_b32_e32 v164, 0x800000, v162
	v_cmp_eq_u32_e32 vcc_lo, 0, v160
	v_add_nc_u32_e32 v160, 0xffffff89, v160
	v_cndmask_b32_e64 v163, v163, 0x77, vcc_lo
	s_delay_alu instid0(VALU_DEP_2) | instskip(SKIP_1) | instid1(VALU_DEP_3)
	v_cndmask_b32_e64 v160, v160, 0xffffff8a, vcc_lo
	v_cndmask_b32_e32 v162, v164, v162, vcc_lo
	v_lshl_add_u32 v164, 0x100000, v163, -1
	v_lshlrev_b32_e64 v167, v163, 0x80000
	s_delay_alu instid0(VALU_DEP_3) | instskip(SKIP_1) | instid1(VALU_DEP_4)
	v_lshrrev_b32_e32 v165, v163, v162
	v_add_nc_u32_e32 v163, v163, v160
	v_and_b32_e32 v162, v164, v162
	s_delay_alu instid0(VALU_DEP_3) | instskip(NEXT) | instid1(VALU_DEP_2)
	v_bfe_u32 v166, v165, 20, 1
	v_cmp_eq_u32_e64 s8, v162, v167
	s_delay_alu instid0(VALU_DEP_2) | instskip(NEXT) | instid1(VALU_DEP_1)
	v_add_nc_u32_e32 v164, -1, v166
	v_cndmask_b32_e64 v162, 0, v164, s8
	v_lshrrev_b32_e32 v164, 23, v165
	s_mov_b32 s8, exec_lo
	s_delay_alu instid0(VALU_DEP_2) | instskip(NEXT) | instid1(VALU_DEP_2)
	v_add_nc_u32_e32 v162, v162, v165
	v_xor_b32_e32 v164, 1, v164
	s_delay_alu instid0(VALU_DEP_2) | instskip(NEXT) | instid1(VALU_DEP_1)
	v_and_b32_e32 v160, 0xfffff, v162
	v_add_nc_u32_e32 v162, v160, v165
                                        ; implicit-def: $vgpr160
	s_delay_alu instid0(VALU_DEP_3)
	v_cmpx_ne_u32_e64 v163, v164
	s_xor_b32 s8, exec_lo, s8
; %bb.471:                              ;   in Loop: Header=BB0_266 Depth=3
	s_delay_alu instid0(VALU_DEP_2) | instskip(SKIP_2) | instid1(VALU_DEP_2)
	v_cmp_lt_u32_e32 vcc_lo, 0xffffff, v162
	v_sub_nc_u32_e32 v160, v163, v164
	v_cndmask_b32_e64 v163, 0, 1, vcc_lo
	v_add_co_ci_u32_e32 v160, vcc_lo, 0, v160, vcc_lo
	s_delay_alu instid0(VALU_DEP_2)
	v_lshrrev_b32_e32 v162, v163, v162
; %bb.472:                              ;   in Loop: Header=BB0_266 Depth=3
	s_and_not1_saveexec_b32 s8, s8
; %bb.473:                              ;   in Loop: Header=BB0_266 Depth=3
	s_delay_alu instid0(VALU_DEP_1)
	v_bfe_u32 v160, v162, 23, 1
; %bb.474:                              ;   in Loop: Header=BB0_266 Depth=3
	s_or_b32 exec_lo, exec_lo, s8
	v_lshrrev_b32_e32 v162, 20, v162
	s_delay_alu instid0(VALU_DEP_2) | instskip(SKIP_2) | instid1(VALU_DEP_2)
	v_cmp_gt_i32_e32 vcc_lo, 16, v160
	v_min_i32_e32 v163, 15, v160
	v_lshrrev_b32_e32 v161, 24, v161
	v_dual_cndmask_b32 v162, 7, v162 :: v_dual_lshlrev_b32 v163, 3, v163
	s_delay_alu instid0(VALU_DEP_2) | instskip(NEXT) | instid1(VALU_DEP_2)
	v_and_b32_e32 v161, 0x80, v161
	v_or_b32_e32 v160, v160, v162
	v_and_b32_e32 v164, 7, v162
	s_delay_alu instid0(VALU_DEP_2) | instskip(SKIP_1) | instid1(VALU_DEP_1)
	v_cmp_ne_u32_e32 vcc_lo, 0, v160
	v_and_b32_e32 v163, 0xf8, v163
	v_or3_b32 v161, v161, v163, v164
	s_delay_alu instid0(VALU_DEP_1) | instskip(NEXT) | instid1(VALU_DEP_1)
	v_lshlrev_b32_e32 v161, 8, v161
	v_cndmask_b32_e32 v160, 0, v161, vcc_lo
.LBB0_475:                              ;   in Loop: Header=BB0_266 Depth=3
	s_or_b32 exec_lo, exec_lo, s20
.LBB0_476:                              ;   in Loop: Header=BB0_266 Depth=3
	s_delay_alu instid0(SALU_CYCLE_1) | instskip(SKIP_3) | instid1(VALU_DEP_1)
	s_or_b32 exec_lo, exec_lo, s9
	v_lshrrev_b32_e32 v162, 16, v21
	s_mov_b32 s8, 0
	s_mov_b32 s20, exec_lo
                                        ; implicit-def: $sgpr9
	v_and_b32_e32 v163, 0xff, v162
	s_delay_alu instid0(VALU_DEP_1)
	v_cmpx_lt_i16_e64 0x7f, v163
	s_xor_b32 s20, exec_lo, s20
	s_cbranch_execnz .LBB0_586
; %bb.477:                              ;   in Loop: Header=BB0_266 Depth=3
	s_or_saveexec_b32 s20, s20
	v_mov_b32_e32 v161, s9
	s_xor_b32 exec_lo, exec_lo, s20
	s_cbranch_execnz .LBB0_589
.LBB0_478:                              ;   in Loop: Header=BB0_266 Depth=3
	s_or_b32 exec_lo, exec_lo, s20
	s_and_saveexec_b32 s9, s8
	s_cbranch_execz .LBB0_480
.LBB0_479:                              ;   in Loop: Header=BB0_266 Depth=3
	v_bfe_u32 v161, v21, 16, 3
	v_lshlrev_b32_e32 v165, 8, v21
	s_delay_alu instid0(VALU_DEP_2) | instskip(NEXT) | instid1(VALU_DEP_1)
	v_clz_i32_u32_e32 v163, v161
	v_min_u32_e32 v163, 32, v163
	s_delay_alu instid0(VALU_DEP_1) | instskip(SKIP_1) | instid1(VALU_DEP_2)
	v_subrev_nc_u32_e32 v164, 28, v163
	v_sub_nc_u32_e32 v163, 29, v163
	v_lshlrev_b32_e32 v162, v164, v162
	v_bfe_u32 v164, v21, 19, 4
	s_delay_alu instid0(VALU_DEP_1) | instskip(NEXT) | instid1(VALU_DEP_3)
	v_cmp_eq_u32_e32 vcc_lo, 0, v164
	v_dual_cndmask_b32 v163, v164, v163 :: v_dual_and_b32 v162, 7, v162
	s_delay_alu instid0(VALU_DEP_1) | instskip(NEXT) | instid1(VALU_DEP_2)
	v_dual_cndmask_b32 v161, v161, v162 :: v_dual_and_b32 v162, 0x80000000, v165
	v_lshl_add_u32 v163, v163, 23, 0x3b800000
	s_delay_alu instid0(VALU_DEP_2) | instskip(NEXT) | instid1(VALU_DEP_1)
	v_lshlrev_b32_e32 v161, 20, v161
	v_or3_b32 v161, v162, v163, v161
.LBB0_480:                              ;   in Loop: Header=BB0_266 Depth=3
	s_or_b32 exec_lo, exec_lo, s9
	v_or_b32_e32 v20, v83, v20
	s_mov_b32 s8, 0
	s_mov_b32 s20, exec_lo
                                        ; implicit-def: $sgpr9
	s_delay_alu instid0(VALU_DEP_1) | instskip(NEXT) | instid1(VALU_DEP_1)
	v_and_b32_e32 v83, 0xff, v20
	v_cmpx_lt_i16_e32 0x7f, v83
	s_xor_b32 s20, exec_lo, s20
	s_cbranch_execnz .LBB0_590
; %bb.481:                              ;   in Loop: Header=BB0_266 Depth=3
	s_or_saveexec_b32 s20, s20
	v_mov_b32_e32 v162, s9
	s_xor_b32 exec_lo, exec_lo, s20
	s_cbranch_execnz .LBB0_593
.LBB0_482:                              ;   in Loop: Header=BB0_266 Depth=3
	s_or_b32 exec_lo, exec_lo, s20
	v_lshl_or_b32 v83, v20, 16, v96
	s_and_saveexec_b32 s9, s8
	s_cbranch_execz .LBB0_484
.LBB0_483:                              ;   in Loop: Header=BB0_266 Depth=3
	s_delay_alu instid0(VALU_DEP_1) | instskip(SKIP_2) | instid1(VALU_DEP_3)
	v_bfe_u32 v20, v83, 16, 3
	v_lshrrev_b32_e32 v162, 16, v83
	v_lshlrev_b32_e32 v164, 8, v83
	v_clz_i32_u32_e32 v96, v20
	s_delay_alu instid0(VALU_DEP_1) | instskip(NEXT) | instid1(VALU_DEP_1)
	v_min_u32_e32 v96, 32, v96
	v_subrev_nc_u32_e32 v163, 28, v96
	v_sub_nc_u32_e32 v96, 29, v96
	s_delay_alu instid0(VALU_DEP_2) | instskip(SKIP_1) | instid1(VALU_DEP_2)
	v_lshlrev_b32_e32 v162, v163, v162
	v_bfe_u32 v163, v83, 19, 4
	v_and_b32_e32 v162, 7, v162
	s_delay_alu instid0(VALU_DEP_2) | instskip(SKIP_1) | instid1(VALU_DEP_3)
	v_cmp_eq_u32_e32 vcc_lo, 0, v163
	v_cndmask_b32_e32 v96, v163, v96, vcc_lo
	v_cndmask_b32_e32 v20, v20, v162, vcc_lo
	v_and_b32_e32 v162, 0x80000000, v164
	s_delay_alu instid0(VALU_DEP_3) | instskip(NEXT) | instid1(VALU_DEP_3)
	v_lshl_add_u32 v96, v96, 23, 0x3b800000
	v_lshlrev_b32_e32 v20, 20, v20
	s_delay_alu instid0(VALU_DEP_1)
	v_or3_b32 v162, v162, v96, v20
.LBB0_484:                              ;   in Loop: Header=BB0_266 Depth=3
	s_or_b32 exec_lo, exec_lo, s9
	s_delay_alu instid0(VALU_DEP_1) | instskip(NEXT) | instid1(VALU_DEP_1)
	v_add_f32_e32 v96, v161, v162
	v_and_b32_e32 v20, 0x7f800000, v96
	s_delay_alu instid0(VALU_DEP_1)
	v_cmp_ne_u32_e32 vcc_lo, 0x7f800000, v20
	v_mov_b32_e32 v20, 0x80
	s_and_saveexec_b32 s9, vcc_lo
	s_cbranch_execz .LBB0_492
; %bb.485:                              ;   in Loop: Header=BB0_266 Depth=3
	v_mov_b32_e32 v20, 0
	s_mov_b32 s20, exec_lo
	v_cmpx_ne_u32_e32 0, v96
	s_cbranch_execz .LBB0_491
; %bb.486:                              ;   in Loop: Header=BB0_266 Depth=3
	v_bfe_u32 v20, v96, 23, 8
	s_delay_alu instid0(VALU_DEP_1) | instskip(SKIP_1) | instid1(VALU_DEP_2)
	v_sub_nc_u32_e32 v162, 0x78, v20
	v_cmp_gt_u32_e32 vcc_lo, 0x79, v20
	v_dual_cndmask_b32 v162, 0, v162 :: v_dual_and_b32 v161, 0x7fffff, v96
	s_delay_alu instid0(VALU_DEP_1) | instskip(SKIP_2) | instid1(VALU_DEP_4)
	v_or_b32_e32 v163, 0x800000, v161
	v_cmp_eq_u32_e32 vcc_lo, 0, v20
	v_add_nc_u32_e32 v20, 0xffffff89, v20
	v_cndmask_b32_e64 v162, v162, 0x77, vcc_lo
	s_delay_alu instid0(VALU_DEP_4) | instskip(NEXT) | instid1(VALU_DEP_3)
	v_cndmask_b32_e32 v161, v163, v161, vcc_lo
	v_cndmask_b32_e64 v20, v20, 0xffffff8a, vcc_lo
	s_delay_alu instid0(VALU_DEP_3) | instskip(NEXT) | instid1(VALU_DEP_3)
	v_lshl_add_u32 v163, 0x100000, v162, -1
	v_lshrrev_b32_e32 v164, v162, v161
	v_lshlrev_b32_e64 v166, v162, 0x80000
	s_delay_alu instid0(VALU_DEP_4) | instskip(NEXT) | instid1(VALU_DEP_4)
	v_add_nc_u32_e32 v162, v162, v20
	v_and_b32_e32 v161, v163, v161
	s_delay_alu instid0(VALU_DEP_4) | instskip(NEXT) | instid1(VALU_DEP_2)
	v_bfe_u32 v165, v164, 20, 1
	v_cmp_eq_u32_e64 s8, v161, v166
	s_delay_alu instid0(VALU_DEP_2) | instskip(NEXT) | instid1(VALU_DEP_1)
	v_add_nc_u32_e32 v163, -1, v165
	v_cndmask_b32_e64 v161, 0, v163, s8
	v_lshrrev_b32_e32 v163, 23, v164
	s_mov_b32 s8, exec_lo
	s_delay_alu instid0(VALU_DEP_2) | instskip(NEXT) | instid1(VALU_DEP_2)
	v_add_nc_u32_e32 v161, v161, v164
	v_xor_b32_e32 v163, 1, v163
	s_delay_alu instid0(VALU_DEP_2) | instskip(NEXT) | instid1(VALU_DEP_1)
	v_and_b32_e32 v20, 0xfffff, v161
	v_add_nc_u32_e32 v161, v20, v164
                                        ; implicit-def: $vgpr20
	s_delay_alu instid0(VALU_DEP_3)
	v_cmpx_ne_u32_e64 v162, v163
	s_xor_b32 s8, exec_lo, s8
; %bb.487:                              ;   in Loop: Header=BB0_266 Depth=3
	s_delay_alu instid0(VALU_DEP_2) | instskip(SKIP_2) | instid1(VALU_DEP_2)
	v_cmp_lt_u32_e32 vcc_lo, 0xffffff, v161
	v_sub_nc_u32_e32 v20, v162, v163
	v_cndmask_b32_e64 v162, 0, 1, vcc_lo
	v_add_co_ci_u32_e32 v20, vcc_lo, 0, v20, vcc_lo
	s_delay_alu instid0(VALU_DEP_2)
	v_lshrrev_b32_e32 v161, v162, v161
; %bb.488:                              ;   in Loop: Header=BB0_266 Depth=3
	s_and_not1_saveexec_b32 s8, s8
; %bb.489:                              ;   in Loop: Header=BB0_266 Depth=3
	s_delay_alu instid0(VALU_DEP_1)
	v_bfe_u32 v20, v161, 23, 1
; %bb.490:                              ;   in Loop: Header=BB0_266 Depth=3
	s_or_b32 exec_lo, exec_lo, s8
	v_lshrrev_b32_e32 v161, 20, v161
	s_delay_alu instid0(VALU_DEP_2) | instskip(SKIP_2) | instid1(VALU_DEP_2)
	v_cmp_gt_i32_e32 vcc_lo, 16, v20
	v_min_i32_e32 v162, 15, v20
	v_lshrrev_b32_e32 v96, 24, v96
	v_dual_cndmask_b32 v161, 7, v161 :: v_dual_lshlrev_b32 v162, 3, v162
	s_delay_alu instid0(VALU_DEP_2) | instskip(NEXT) | instid1(VALU_DEP_2)
	v_and_b32_e32 v96, 0x80, v96
	v_or_b32_e32 v20, v20, v161
	s_delay_alu instid0(VALU_DEP_3) | instskip(NEXT) | instid1(VALU_DEP_2)
	v_and_b32_e32 v162, 0xf8, v162
	v_cmp_ne_u32_e32 vcc_lo, 0, v20
	v_and_b32_e32 v163, 7, v161
	s_delay_alu instid0(VALU_DEP_1) | instskip(NEXT) | instid1(VALU_DEP_1)
	v_or3_b32 v96, v162, v96, v163
	v_cndmask_b32_e32 v20, 0, v96, vcc_lo
.LBB0_491:                              ;   in Loop: Header=BB0_266 Depth=3
	s_or_b32 exec_lo, exec_lo, s20
.LBB0_492:                              ;   in Loop: Header=BB0_266 Depth=3
	s_delay_alu instid0(SALU_CYCLE_1) | instskip(SKIP_3) | instid1(VALU_DEP_1)
	s_or_b32 exec_lo, exec_lo, s9
	v_lshrrev_b32_e32 v161, 24, v21
	s_mov_b32 s8, 0
	s_mov_b32 s20, exec_lo
                                        ; implicit-def: $sgpr9
	v_cmpx_lt_i16_e64 0x7f, v161
	s_xor_b32 s20, exec_lo, s20
	s_cbranch_execnz .LBB0_594
; %bb.493:                              ;   in Loop: Header=BB0_266 Depth=3
	s_or_saveexec_b32 s20, s20
	v_mov_b32_e32 v96, s9
	s_xor_b32 exec_lo, exec_lo, s20
	s_cbranch_execnz .LBB0_597
.LBB0_494:                              ;   in Loop: Header=BB0_266 Depth=3
	s_or_b32 exec_lo, exec_lo, s20
	s_and_saveexec_b32 s9, s8
	s_cbranch_execz .LBB0_496
.LBB0_495:                              ;   in Loop: Header=BB0_266 Depth=3
	v_bfe_u32 v96, v21, 24, 3
	s_delay_alu instid0(VALU_DEP_1) | instskip(NEXT) | instid1(VALU_DEP_1)
	v_clz_i32_u32_e32 v162, v96
	v_min_u32_e32 v162, 32, v162
	s_delay_alu instid0(VALU_DEP_1) | instskip(SKIP_1) | instid1(VALU_DEP_2)
	v_subrev_nc_u32_e32 v163, 28, v162
	v_sub_nc_u32_e32 v162, 29, v162
	v_lshlrev_b32_e32 v161, v163, v161
	v_bfe_u32 v163, v21, 27, 4
	v_and_b32_e32 v21, 0x80000000, v21
	s_delay_alu instid0(VALU_DEP_2) | instskip(NEXT) | instid1(VALU_DEP_4)
	v_cmp_eq_u32_e32 vcc_lo, 0, v163
	v_dual_cndmask_b32 v162, v163, v162 :: v_dual_and_b32 v161, 7, v161
	s_delay_alu instid0(VALU_DEP_1) | instskip(NEXT) | instid1(VALU_DEP_2)
	v_cndmask_b32_e32 v96, v96, v161, vcc_lo
	v_lshl_add_u32 v161, v162, 23, 0x3b800000
	s_delay_alu instid0(VALU_DEP_2) | instskip(NEXT) | instid1(VALU_DEP_1)
	v_lshlrev_b32_e32 v96, 20, v96
	v_or3_b32 v96, v21, v161, v96
.LBB0_496:                              ;   in Loop: Header=BB0_266 Depth=3
	s_or_b32 exec_lo, exec_lo, s9
	v_lshrrev_b32_e32 v21, 24, v83
	s_mov_b32 s8, 0
	s_mov_b32 s20, exec_lo
                                        ; implicit-def: $sgpr9
	s_delay_alu instid0(VALU_DEP_1)
	v_cmpx_lt_i16_e32 0x7f, v21
	s_xor_b32 s20, exec_lo, s20
	s_cbranch_execnz .LBB0_598
; %bb.497:                              ;   in Loop: Header=BB0_266 Depth=3
	s_or_saveexec_b32 s20, s20
	v_mov_b32_e32 v161, s9
	s_xor_b32 exec_lo, exec_lo, s20
	s_cbranch_execnz .LBB0_601
.LBB0_498:                              ;   in Loop: Header=BB0_266 Depth=3
	s_or_b32 exec_lo, exec_lo, s20
	s_and_saveexec_b32 s9, s8
	s_cbranch_execz .LBB0_500
.LBB0_499:                              ;   in Loop: Header=BB0_266 Depth=3
	v_bfe_u32 v161, v83, 24, 3
	s_delay_alu instid0(VALU_DEP_1) | instskip(NEXT) | instid1(VALU_DEP_1)
	v_clz_i32_u32_e32 v162, v161
	v_min_u32_e32 v162, 32, v162
	s_delay_alu instid0(VALU_DEP_1) | instskip(SKIP_1) | instid1(VALU_DEP_2)
	v_subrev_nc_u32_e32 v163, 28, v162
	v_sub_nc_u32_e32 v162, 29, v162
	v_lshlrev_b32_e32 v21, v163, v21
	v_bfe_u32 v163, v83, 27, 4
	v_and_b32_e32 v83, 0x80000000, v83
	s_delay_alu instid0(VALU_DEP_2) | instskip(NEXT) | instid1(VALU_DEP_4)
	v_cmp_eq_u32_e32 vcc_lo, 0, v163
	v_dual_cndmask_b32 v162, v163, v162 :: v_dual_and_b32 v21, 7, v21
	s_delay_alu instid0(VALU_DEP_1) | instskip(NEXT) | instid1(VALU_DEP_2)
	v_cndmask_b32_e32 v21, v161, v21, vcc_lo
	v_lshl_add_u32 v161, v162, 23, 0x3b800000
	s_delay_alu instid0(VALU_DEP_2) | instskip(NEXT) | instid1(VALU_DEP_1)
	v_lshlrev_b32_e32 v21, 20, v21
	v_or3_b32 v161, v83, v161, v21
.LBB0_500:                              ;   in Loop: Header=BB0_266 Depth=3
	s_or_b32 exec_lo, exec_lo, s9
	s_delay_alu instid0(VALU_DEP_1) | instskip(NEXT) | instid1(VALU_DEP_1)
	v_add_f32_e32 v21, v96, v161
	v_and_b32_e32 v83, 0x7f800000, v21
	s_delay_alu instid0(VALU_DEP_1)
	v_cmp_ne_u32_e32 vcc_lo, 0x7f800000, v83
	v_mov_b32_e32 v83, 0x8000
	s_and_saveexec_b32 s9, vcc_lo
	s_cbranch_execz .LBB0_265
; %bb.501:                              ;   in Loop: Header=BB0_266 Depth=3
	v_mov_b32_e32 v83, 0
	s_mov_b32 s20, exec_lo
	v_cmpx_ne_u32_e32 0, v21
	s_cbranch_execz .LBB0_264
; %bb.502:                              ;   in Loop: Header=BB0_266 Depth=3
	v_bfe_u32 v83, v21, 23, 8
	v_and_b32_e32 v96, 0x7fffff, v21
	s_delay_alu instid0(VALU_DEP_2) | instskip(SKIP_1) | instid1(VALU_DEP_3)
	v_sub_nc_u32_e32 v161, 0x78, v83
	v_cmp_gt_u32_e32 vcc_lo, 0x79, v83
	v_or_b32_e32 v162, 0x800000, v96
	s_delay_alu instid0(VALU_DEP_3) | instskip(SKIP_1) | instid1(VALU_DEP_3)
	v_cndmask_b32_e32 v161, 0, v161, vcc_lo
	v_cmp_eq_u32_e32 vcc_lo, 0, v83
	v_dual_cndmask_b32 v96, v162, v96 :: v_dual_add_nc_u32 v83, 0xffffff89, v83
	s_delay_alu instid0(VALU_DEP_3) | instskip(NEXT) | instid1(VALU_DEP_2)
	v_cndmask_b32_e64 v161, v161, 0x77, vcc_lo
	v_cndmask_b32_e64 v83, v83, 0xffffff8a, vcc_lo
	s_delay_alu instid0(VALU_DEP_2) | instskip(SKIP_2) | instid1(VALU_DEP_4)
	v_lshrrev_b32_e32 v163, v161, v96
	v_lshl_add_u32 v162, 0x100000, v161, -1
	v_lshlrev_b32_e64 v165, v161, 0x80000
	v_add_nc_u32_e32 v161, v161, v83
	s_delay_alu instid0(VALU_DEP_4) | instskip(NEXT) | instid1(VALU_DEP_4)
	v_bfe_u32 v164, v163, 20, 1
	v_and_b32_e32 v96, v162, v96
	s_delay_alu instid0(VALU_DEP_2) | instskip(NEXT) | instid1(VALU_DEP_2)
	v_add_nc_u32_e32 v162, -1, v164
	v_cmp_eq_u32_e64 s8, v96, v165
	s_delay_alu instid0(VALU_DEP_1) | instskip(SKIP_2) | instid1(VALU_DEP_2)
	v_cndmask_b32_e64 v96, 0, v162, s8
	v_lshrrev_b32_e32 v162, 23, v163
	s_mov_b32 s8, exec_lo
	v_add_nc_u32_e32 v96, v96, v163
	s_delay_alu instid0(VALU_DEP_2) | instskip(NEXT) | instid1(VALU_DEP_2)
	v_xor_b32_e32 v162, 1, v162
	v_and_b32_e32 v83, 0xfffff, v96
	s_delay_alu instid0(VALU_DEP_1) | instskip(NEXT) | instid1(VALU_DEP_3)
	v_add_nc_u32_e32 v96, v83, v163
                                        ; implicit-def: $vgpr83
	v_cmpx_ne_u32_e64 v161, v162
	s_xor_b32 s8, exec_lo, s8
; %bb.503:                              ;   in Loop: Header=BB0_266 Depth=3
	s_delay_alu instid0(VALU_DEP_2) | instskip(SKIP_2) | instid1(VALU_DEP_2)
	v_cmp_lt_u32_e32 vcc_lo, 0xffffff, v96
	v_sub_nc_u32_e32 v83, v161, v162
	v_cndmask_b32_e64 v161, 0, 1, vcc_lo
	v_add_co_ci_u32_e32 v83, vcc_lo, 0, v83, vcc_lo
	s_delay_alu instid0(VALU_DEP_2)
	v_lshrrev_b32_e32 v96, v161, v96
; %bb.504:                              ;   in Loop: Header=BB0_266 Depth=3
	s_and_not1_saveexec_b32 s8, s8
	s_cbranch_execz .LBB0_263
; %bb.505:                              ;   in Loop: Header=BB0_266 Depth=3
	s_delay_alu instid0(VALU_DEP_1)
	v_bfe_u32 v83, v96, 23, 1
	s_branch .LBB0_263
.LBB0_506:                              ;   in Loop: Header=BB0_266 Depth=3
	s_mov_b32 s8, -1
	s_mov_b32 s21, exec_lo
                                        ; implicit-def: $sgpr9
	v_cmpx_eq_u16_e32 0x80, v83
; %bb.507:                              ;   in Loop: Header=BB0_266 Depth=3
	s_mov_b32 s9, 0x7f800001
	s_xor_b32 s8, exec_lo, -1
; %bb.508:                              ;   in Loop: Header=BB0_266 Depth=3
	s_or_b32 exec_lo, exec_lo, s21
	s_delay_alu instid0(SALU_CYCLE_1)
	s_and_b32 s8, s8, exec_lo
                                        ; implicit-def: $vgpr83
	s_or_saveexec_b32 s20, s20
	v_mov_b32_e32 v17, s9
	s_xor_b32 exec_lo, exec_lo, s20
	s_cbranch_execz .LBB0_286
.LBB0_509:                              ;   in Loop: Header=BB0_266 Depth=3
	v_cmp_ne_u16_e32 vcc_lo, 0, v83
	v_mov_b32_e32 v17, 0
	s_and_not1_b32 s8, s8, exec_lo
	s_and_b32 s9, vcc_lo, exec_lo
	s_delay_alu instid0(SALU_CYCLE_1)
	s_or_b32 s8, s8, s9
	s_or_b32 exec_lo, exec_lo, s20
	s_and_saveexec_b32 s9, s8
	s_cbranch_execnz .LBB0_287
	s_branch .LBB0_288
.LBB0_510:                              ;   in Loop: Header=BB0_266 Depth=3
	s_mov_b32 s8, -1
	s_mov_b32 s21, exec_lo
                                        ; implicit-def: $sgpr9
	v_cmpx_eq_u16_e32 0x80, v83
; %bb.511:                              ;   in Loop: Header=BB0_266 Depth=3
	s_mov_b32 s9, 0x7f800001
	s_xor_b32 s8, exec_lo, -1
; %bb.512:                              ;   in Loop: Header=BB0_266 Depth=3
	s_or_b32 exec_lo, exec_lo, s21
	s_delay_alu instid0(SALU_CYCLE_1)
	s_and_b32 s8, s8, exec_lo
	s_or_saveexec_b32 s20, s20
	v_mov_b32_e32 v96, s9
	s_xor_b32 exec_lo, exec_lo, s20
	s_cbranch_execz .LBB0_298
.LBB0_513:                              ;   in Loop: Header=BB0_266 Depth=3
	v_cmp_ne_u16_e32 vcc_lo, 0, v83
	v_mov_b32_e32 v96, 0
	s_and_not1_b32 s8, s8, exec_lo
	s_and_b32 s9, vcc_lo, exec_lo
	s_delay_alu instid0(SALU_CYCLE_1)
	s_or_b32 s8, s8, s9
	s_or_b32 exec_lo, exec_lo, s20
	s_and_saveexec_b32 s9, s8
	s_cbranch_execnz .LBB0_299
	s_branch .LBB0_300
.LBB0_514:                              ;   in Loop: Header=BB0_266 Depth=3
	s_mov_b32 s8, -1
	s_mov_b32 s21, exec_lo
                                        ; implicit-def: $sgpr9
	v_cmpx_eq_u16_e32 0x80, v97
; %bb.515:                              ;   in Loop: Header=BB0_266 Depth=3
	s_mov_b32 s9, 0x7f800001
	s_xor_b32 s8, exec_lo, -1
; %bb.516:                              ;   in Loop: Header=BB0_266 Depth=3
	s_or_b32 exec_lo, exec_lo, s21
	s_delay_alu instid0(SALU_CYCLE_1)
	s_and_b32 s8, s8, exec_lo
                                        ; implicit-def: $vgpr97
	s_or_saveexec_b32 s20, s20
	v_mov_b32_e32 v96, s9
	s_xor_b32 exec_lo, exec_lo, s20
	s_cbranch_execz .LBB0_310
.LBB0_517:                              ;   in Loop: Header=BB0_266 Depth=3
	v_cmp_ne_u16_e32 vcc_lo, 0, v97
	v_mov_b32_e32 v96, 0
	s_and_not1_b32 s8, s8, exec_lo
	s_and_b32 s9, vcc_lo, exec_lo
	s_delay_alu instid0(SALU_CYCLE_1)
	s_or_b32 s8, s8, s9
	s_or_b32 exec_lo, exec_lo, s20
	s_and_saveexec_b32 s9, s8
	s_cbranch_execnz .LBB0_311
	s_branch .LBB0_312
.LBB0_518:                              ;   in Loop: Header=BB0_266 Depth=3
	s_mov_b32 s8, -1
	s_mov_b32 s21, exec_lo
                                        ; implicit-def: $sgpr9
	v_cmpx_eq_u16_e32 0x80, v83
; %bb.519:                              ;   in Loop: Header=BB0_266 Depth=3
	s_mov_b32 s9, 0x7f800001
	s_xor_b32 s8, exec_lo, -1
; %bb.520:                              ;   in Loop: Header=BB0_266 Depth=3
	s_or_b32 exec_lo, exec_lo, s21
	s_delay_alu instid0(SALU_CYCLE_1)
	s_and_b32 s8, s8, exec_lo
	s_or_saveexec_b32 s20, s20
	v_mov_b32_e32 v96, s9
	s_xor_b32 exec_lo, exec_lo, s20
	s_cbranch_execz .LBB0_322
.LBB0_521:                              ;   in Loop: Header=BB0_266 Depth=3
	v_cmp_ne_u16_e32 vcc_lo, 0, v83
	v_mov_b32_e32 v96, 0
	s_and_not1_b32 s8, s8, exec_lo
	s_and_b32 s9, vcc_lo, exec_lo
	s_delay_alu instid0(SALU_CYCLE_1)
	s_or_b32 s8, s8, s9
	s_or_b32 exec_lo, exec_lo, s20
	s_and_saveexec_b32 s9, s8
	s_cbranch_execnz .LBB0_323
	s_branch .LBB0_324
.LBB0_522:                              ;   in Loop: Header=BB0_266 Depth=3
	s_mov_b32 s8, -1
	s_mov_b32 s21, exec_lo
                                        ; implicit-def: $sgpr9
	v_cmpx_eq_u16_e32 0x80, v22
; %bb.523:                              ;   in Loop: Header=BB0_266 Depth=3
	s_mov_b32 s9, 0x7f800001
	s_xor_b32 s8, exec_lo, -1
; %bb.524:                              ;   in Loop: Header=BB0_266 Depth=3
	s_or_b32 exec_lo, exec_lo, s21
	s_delay_alu instid0(SALU_CYCLE_1)
	s_and_b32 s8, s8, exec_lo
                                        ; implicit-def: $vgpr22
	s_or_saveexec_b32 s20, s20
	v_mov_b32_e32 v20, s9
	s_xor_b32 exec_lo, exec_lo, s20
	s_cbranch_execz .LBB0_334
.LBB0_525:                              ;   in Loop: Header=BB0_266 Depth=3
	v_cmp_ne_u16_e32 vcc_lo, 0, v22
	v_mov_b32_e32 v20, 0
	s_and_not1_b32 s8, s8, exec_lo
	s_and_b32 s9, vcc_lo, exec_lo
	s_delay_alu instid0(SALU_CYCLE_1)
	s_or_b32 s8, s8, s9
	s_or_b32 exec_lo, exec_lo, s20
	s_and_saveexec_b32 s9, s8
	s_cbranch_execnz .LBB0_335
	s_branch .LBB0_336
.LBB0_526:                              ;   in Loop: Header=BB0_266 Depth=3
	s_mov_b32 s8, -1
	s_mov_b32 s21, exec_lo
                                        ; implicit-def: $sgpr9
	v_cmpx_eq_u16_e32 0x80, v20
; %bb.527:                              ;   in Loop: Header=BB0_266 Depth=3
	s_mov_b32 s9, 0x7f800001
	s_xor_b32 s8, exec_lo, -1
; %bb.528:                              ;   in Loop: Header=BB0_266 Depth=3
	s_or_b32 exec_lo, exec_lo, s21
	s_delay_alu instid0(SALU_CYCLE_1)
	s_and_b32 s8, s8, exec_lo
	s_or_saveexec_b32 s20, s20
	v_mov_b32_e32 v160, s9
	s_xor_b32 exec_lo, exec_lo, s20
	s_cbranch_execz .LBB0_346
.LBB0_529:                              ;   in Loop: Header=BB0_266 Depth=3
	v_cmp_ne_u16_e32 vcc_lo, 0, v20
	v_mov_b32_e32 v160, 0
	s_and_not1_b32 s8, s8, exec_lo
	s_and_b32 s9, vcc_lo, exec_lo
	s_delay_alu instid0(SALU_CYCLE_1)
	s_or_b32 s8, s8, s9
	s_or_b32 exec_lo, exec_lo, s20
	s_and_saveexec_b32 s9, s8
	s_cbranch_execnz .LBB0_347
	s_branch .LBB0_348
.LBB0_530:                              ;   in Loop: Header=BB0_266 Depth=3
	s_mov_b32 s8, -1
	s_mov_b32 s21, exec_lo
                                        ; implicit-def: $sgpr9
	v_cmpx_eq_u16_e64 0x80, v162
; %bb.531:                              ;   in Loop: Header=BB0_266 Depth=3
	s_mov_b32 s9, 0x7f800001
	s_xor_b32 s8, exec_lo, -1
; %bb.532:                              ;   in Loop: Header=BB0_266 Depth=3
	s_or_b32 exec_lo, exec_lo, s21
	s_delay_alu instid0(SALU_CYCLE_1)
	s_and_b32 s8, s8, exec_lo
                                        ; implicit-def: $vgpr162
	s_or_saveexec_b32 s20, s20
	v_mov_b32_e32 v161, s9
	s_xor_b32 exec_lo, exec_lo, s20
	s_cbranch_execz .LBB0_358
.LBB0_533:                              ;   in Loop: Header=BB0_266 Depth=3
	v_cmp_ne_u16_e64 vcc_lo, 0, v162
	v_mov_b32_e32 v161, 0
	s_and_not1_b32 s8, s8, exec_lo
	s_delay_alu instid0(VALU_DEP_2) | instskip(NEXT) | instid1(SALU_CYCLE_1)
	s_and_b32 s9, vcc_lo, exec_lo
	s_or_b32 s8, s8, s9
	s_or_b32 exec_lo, exec_lo, s20
	s_and_saveexec_b32 s9, s8
	s_cbranch_execnz .LBB0_359
	s_branch .LBB0_360
.LBB0_534:                              ;   in Loop: Header=BB0_266 Depth=3
	s_mov_b32 s8, -1
	s_mov_b32 s21, exec_lo
                                        ; implicit-def: $sgpr9
	v_cmpx_eq_u16_e64 0x80, v161
; %bb.535:                              ;   in Loop: Header=BB0_266 Depth=3
	s_mov_b32 s9, 0x7f800001
	s_xor_b32 s8, exec_lo, -1
; %bb.536:                              ;   in Loop: Header=BB0_266 Depth=3
	s_or_b32 exec_lo, exec_lo, s21
	s_delay_alu instid0(SALU_CYCLE_1)
	s_and_b32 s8, s8, exec_lo
	s_or_saveexec_b32 s20, s20
	v_mov_b32_e32 v162, s9
	s_xor_b32 exec_lo, exec_lo, s20
	s_cbranch_execz .LBB0_370
.LBB0_537:                              ;   in Loop: Header=BB0_266 Depth=3
	v_cmp_ne_u16_e64 vcc_lo, 0, v161
	v_mov_b32_e32 v162, 0
	s_and_not1_b32 s8, s8, exec_lo
	s_delay_alu instid0(VALU_DEP_2) | instskip(NEXT) | instid1(SALU_CYCLE_1)
	s_and_b32 s9, vcc_lo, exec_lo
	s_or_b32 s8, s8, s9
	s_or_b32 exec_lo, exec_lo, s20
	s_and_saveexec_b32 s9, s8
	s_cbranch_execnz .LBB0_371
	s_branch .LBB0_372
.LBB0_538:                              ;   in Loop: Header=BB0_266 Depth=3
	s_mov_b32 s8, -1
	s_mov_b32 s21, exec_lo
                                        ; implicit-def: $sgpr9
	v_cmpx_eq_u16_e64 0x80, v162
; %bb.539:                              ;   in Loop: Header=BB0_266 Depth=3
	s_mov_b32 s9, 0x7f800001
	s_xor_b32 s8, exec_lo, -1
; %bb.540:                              ;   in Loop: Header=BB0_266 Depth=3
	s_or_b32 exec_lo, exec_lo, s21
	s_delay_alu instid0(SALU_CYCLE_1)
	s_and_b32 s8, s8, exec_lo
                                        ; implicit-def: $vgpr162
	s_or_saveexec_b32 s20, s20
	v_mov_b32_e32 v161, s9
	s_xor_b32 exec_lo, exec_lo, s20
	s_cbranch_execz .LBB0_382
.LBB0_541:                              ;   in Loop: Header=BB0_266 Depth=3
	v_cmp_ne_u16_e64 vcc_lo, 0, v162
	v_mov_b32_e32 v161, 0
	s_and_not1_b32 s8, s8, exec_lo
	s_delay_alu instid0(VALU_DEP_2) | instskip(NEXT) | instid1(SALU_CYCLE_1)
	s_and_b32 s9, vcc_lo, exec_lo
	s_or_b32 s8, s8, s9
	s_or_b32 exec_lo, exec_lo, s20
	s_and_saveexec_b32 s9, s8
	s_cbranch_execnz .LBB0_383
	s_branch .LBB0_384
.LBB0_542:                              ;   in Loop: Header=BB0_266 Depth=3
	s_mov_b32 s8, -1
	s_mov_b32 s21, exec_lo
                                        ; implicit-def: $sgpr9
	v_cmpx_eq_u16_e64 0x80, v163
; %bb.543:                              ;   in Loop: Header=BB0_266 Depth=3
	s_mov_b32 s9, 0x7f800001
	s_xor_b32 s8, exec_lo, -1
; %bb.544:                              ;   in Loop: Header=BB0_266 Depth=3
	s_or_b32 exec_lo, exec_lo, s21
	s_delay_alu instid0(SALU_CYCLE_1)
	s_and_b32 s8, s8, exec_lo
                                        ; implicit-def: $vgpr163
	s_or_saveexec_b32 s20, s20
	v_mov_b32_e32 v162, s9
	s_xor_b32 exec_lo, exec_lo, s20
	s_cbranch_execz .LBB0_386
.LBB0_545:                              ;   in Loop: Header=BB0_266 Depth=3
	v_cmp_ne_u16_e64 vcc_lo, 0, v163
	v_mov_b32_e32 v162, 0
	s_and_not1_b32 s8, s8, exec_lo
	s_delay_alu instid0(VALU_DEP_2) | instskip(NEXT) | instid1(SALU_CYCLE_1)
	s_and_b32 s9, vcc_lo, exec_lo
	s_or_b32 s8, s8, s9
	s_or_b32 exec_lo, exec_lo, s20
	s_and_saveexec_b32 s9, s8
	s_cbranch_execnz .LBB0_387
	s_branch .LBB0_388
.LBB0_546:                              ;   in Loop: Header=BB0_266 Depth=3
	s_mov_b32 s8, -1
	s_mov_b32 s21, exec_lo
                                        ; implicit-def: $sgpr9
	v_cmpx_eq_u16_e64 0x80, v162
; %bb.547:                              ;   in Loop: Header=BB0_266 Depth=3
	s_mov_b32 s9, 0x7f800001
	s_xor_b32 s8, exec_lo, -1
; %bb.548:                              ;   in Loop: Header=BB0_266 Depth=3
	s_or_b32 exec_lo, exec_lo, s21
	s_delay_alu instid0(SALU_CYCLE_1)
	s_and_b32 s8, s8, exec_lo
	s_or_saveexec_b32 s20, s20
	v_mov_b32_e32 v161, s9
	s_xor_b32 exec_lo, exec_lo, s20
	s_cbranch_execz .LBB0_398
.LBB0_549:                              ;   in Loop: Header=BB0_266 Depth=3
	v_cmp_ne_u16_e64 vcc_lo, 0, v162
	v_mov_b32_e32 v161, 0
	s_and_not1_b32 s8, s8, exec_lo
	s_delay_alu instid0(VALU_DEP_2) | instskip(NEXT) | instid1(SALU_CYCLE_1)
	s_and_b32 s9, vcc_lo, exec_lo
	s_or_b32 s8, s8, s9
	s_or_b32 exec_lo, exec_lo, s20
	s_and_saveexec_b32 s9, s8
	s_cbranch_execnz .LBB0_399
	s_branch .LBB0_400
.LBB0_550:                              ;   in Loop: Header=BB0_266 Depth=3
	s_mov_b32 s8, -1
	s_mov_b32 s21, exec_lo
                                        ; implicit-def: $sgpr9
	v_cmpx_eq_u16_e64 0x80, v163
; %bb.551:                              ;   in Loop: Header=BB0_266 Depth=3
	s_mov_b32 s9, 0x7f800001
	s_xor_b32 s8, exec_lo, -1
; %bb.552:                              ;   in Loop: Header=BB0_266 Depth=3
	s_or_b32 exec_lo, exec_lo, s21
	s_delay_alu instid0(SALU_CYCLE_1)
	s_and_b32 s8, s8, exec_lo
                                        ; implicit-def: $vgpr163
	s_or_saveexec_b32 s20, s20
	v_mov_b32_e32 v162, s9
	s_xor_b32 exec_lo, exec_lo, s20
	s_cbranch_execz .LBB0_402
.LBB0_553:                              ;   in Loop: Header=BB0_266 Depth=3
	v_cmp_ne_u16_e64 vcc_lo, 0, v163
	v_mov_b32_e32 v162, 0
	s_and_not1_b32 s8, s8, exec_lo
	s_delay_alu instid0(VALU_DEP_2) | instskip(NEXT) | instid1(SALU_CYCLE_1)
	s_and_b32 s9, vcc_lo, exec_lo
	s_or_b32 s8, s8, s9
	s_or_b32 exec_lo, exec_lo, s20
	s_and_saveexec_b32 s9, s8
	s_cbranch_execnz .LBB0_403
	s_branch .LBB0_404
.LBB0_554:                              ;   in Loop: Header=BB0_266 Depth=3
	s_mov_b32 s8, -1
	s_mov_b32 s21, exec_lo
                                        ; implicit-def: $sgpr9
	v_cmpx_eq_u16_e64 0x80, v163
; %bb.555:                              ;   in Loop: Header=BB0_266 Depth=3
	s_mov_b32 s9, 0x7f800001
	s_xor_b32 s8, exec_lo, -1
; %bb.556:                              ;   in Loop: Header=BB0_266 Depth=3
	s_or_b32 exec_lo, exec_lo, s21
	s_delay_alu instid0(SALU_CYCLE_1)
	s_and_b32 s8, s8, exec_lo
                                        ; implicit-def: $vgpr163
	s_or_saveexec_b32 s20, s20
	v_mov_b32_e32 v161, s9
	s_xor_b32 exec_lo, exec_lo, s20
	s_cbranch_execz .LBB0_414
.LBB0_557:                              ;   in Loop: Header=BB0_266 Depth=3
	v_cmp_ne_u16_e64 vcc_lo, 0, v163
	v_mov_b32_e32 v161, 0
	s_and_not1_b32 s8, s8, exec_lo
	s_delay_alu instid0(VALU_DEP_2) | instskip(NEXT) | instid1(SALU_CYCLE_1)
	s_and_b32 s9, vcc_lo, exec_lo
	s_or_b32 s8, s8, s9
	s_or_b32 exec_lo, exec_lo, s20
	s_and_saveexec_b32 s9, s8
	s_cbranch_execnz .LBB0_415
	s_branch .LBB0_416
.LBB0_558:                              ;   in Loop: Header=BB0_266 Depth=3
	s_mov_b32 s8, -1
	s_mov_b32 s21, exec_lo
                                        ; implicit-def: $sgpr9
	v_cmpx_eq_u16_e64 0x80, v163
; %bb.559:                              ;   in Loop: Header=BB0_266 Depth=3
	s_mov_b32 s9, 0x7f800001
	s_xor_b32 s8, exec_lo, -1
; %bb.560:                              ;   in Loop: Header=BB0_266 Depth=3
	s_or_b32 exec_lo, exec_lo, s21
	s_delay_alu instid0(SALU_CYCLE_1)
	s_and_b32 s8, s8, exec_lo
                                        ; implicit-def: $vgpr163
	s_or_saveexec_b32 s20, s20
	v_mov_b32_e32 v162, s9
	s_xor_b32 exec_lo, exec_lo, s20
	s_cbranch_execz .LBB0_418
.LBB0_561:                              ;   in Loop: Header=BB0_266 Depth=3
	v_cmp_ne_u16_e64 vcc_lo, 0, v163
	v_mov_b32_e32 v162, 0
	s_and_not1_b32 s8, s8, exec_lo
	s_delay_alu instid0(VALU_DEP_2) | instskip(NEXT) | instid1(SALU_CYCLE_1)
	s_and_b32 s9, vcc_lo, exec_lo
	s_or_b32 s8, s8, s9
	s_or_b32 exec_lo, exec_lo, s20
	s_and_saveexec_b32 s9, s8
	s_cbranch_execnz .LBB0_419
	s_branch .LBB0_420
.LBB0_562:                              ;   in Loop: Header=BB0_266 Depth=3
	s_mov_b32 s8, -1
	s_mov_b32 s21, exec_lo
                                        ; implicit-def: $sgpr9
	v_cmpx_eq_u16_e64 0x80, v162
; %bb.563:                              ;   in Loop: Header=BB0_266 Depth=3
	s_mov_b32 s9, 0x7f800001
	s_xor_b32 s8, exec_lo, -1
; %bb.564:                              ;   in Loop: Header=BB0_266 Depth=3
	s_or_b32 exec_lo, exec_lo, s21
	s_delay_alu instid0(SALU_CYCLE_1)
	s_and_b32 s8, s8, exec_lo
	s_or_saveexec_b32 s20, s20
	v_mov_b32_e32 v161, s9
	s_xor_b32 exec_lo, exec_lo, s20
	s_cbranch_execz .LBB0_430
.LBB0_565:                              ;   in Loop: Header=BB0_266 Depth=3
	v_cmp_ne_u16_e64 vcc_lo, 0, v162
	v_mov_b32_e32 v161, 0
	s_and_not1_b32 s8, s8, exec_lo
	s_delay_alu instid0(VALU_DEP_2) | instskip(NEXT) | instid1(SALU_CYCLE_1)
	s_and_b32 s9, vcc_lo, exec_lo
	s_or_b32 s8, s8, s9
	s_or_b32 exec_lo, exec_lo, s20
	s_and_saveexec_b32 s9, s8
	s_cbranch_execnz .LBB0_431
	s_branch .LBB0_432
.LBB0_566:                              ;   in Loop: Header=BB0_266 Depth=3
	s_mov_b32 s8, -1
	s_mov_b32 s21, exec_lo
                                        ; implicit-def: $sgpr9
	v_cmpx_eq_u16_e32 0x80, v19
; %bb.567:                              ;   in Loop: Header=BB0_266 Depth=3
	s_mov_b32 s9, 0x7f800001
	s_xor_b32 s8, exec_lo, -1
; %bb.568:                              ;   in Loop: Header=BB0_266 Depth=3
	s_or_b32 exec_lo, exec_lo, s21
	s_delay_alu instid0(SALU_CYCLE_1)
	s_and_b32 s8, s8, exec_lo
	s_or_saveexec_b32 s20, s20
	v_mov_b32_e32 v162, s9
	s_xor_b32 exec_lo, exec_lo, s20
	s_cbranch_execz .LBB0_434
.LBB0_569:                              ;   in Loop: Header=BB0_266 Depth=3
	v_cmp_ne_u16_e32 vcc_lo, 0, v19
	v_mov_b32_e32 v162, 0
	s_and_not1_b32 s8, s8, exec_lo
	s_and_b32 s9, vcc_lo, exec_lo
	s_delay_alu instid0(SALU_CYCLE_1)
	s_or_b32 s8, s8, s9
	s_or_b32 exec_lo, exec_lo, s20
	s_and_saveexec_b32 s9, s8
	s_cbranch_execnz .LBB0_435
	s_branch .LBB0_436
.LBB0_570:                              ;   in Loop: Header=BB0_266 Depth=3
	s_mov_b32 s8, -1
	s_mov_b32 s21, exec_lo
                                        ; implicit-def: $sgpr9
	v_cmpx_eq_u16_e32 0x80, v96
; %bb.571:                              ;   in Loop: Header=BB0_266 Depth=3
	s_mov_b32 s9, 0x7f800001
	s_xor_b32 s8, exec_lo, -1
; %bb.572:                              ;   in Loop: Header=BB0_266 Depth=3
	s_or_b32 exec_lo, exec_lo, s21
	s_delay_alu instid0(SALU_CYCLE_1)
	s_and_b32 s8, s8, exec_lo
                                        ; implicit-def: $vgpr96
	s_or_saveexec_b32 s20, s20
	v_mov_b32_e32 v162, s9
	s_xor_b32 exec_lo, exec_lo, s20
	s_cbranch_execz .LBB0_446
.LBB0_573:                              ;   in Loop: Header=BB0_266 Depth=3
	v_cmp_ne_u16_e32 vcc_lo, 0, v96
	v_mov_b32_e32 v162, 0
	s_and_not1_b32 s8, s8, exec_lo
	s_and_b32 s9, vcc_lo, exec_lo
	s_delay_alu instid0(SALU_CYCLE_1)
	s_or_b32 s8, s8, s9
	s_or_b32 exec_lo, exec_lo, s20
	s_and_saveexec_b32 s9, s8
	s_cbranch_execnz .LBB0_447
	s_branch .LBB0_448
.LBB0_574:                              ;   in Loop: Header=BB0_266 Depth=3
	s_mov_b32 s8, -1
	s_mov_b32 s21, exec_lo
                                        ; implicit-def: $sgpr9
	v_cmpx_eq_u16_e64 0x80, v160
; %bb.575:                              ;   in Loop: Header=BB0_266 Depth=3
	s_mov_b32 s9, 0x7f800001
	s_xor_b32 s8, exec_lo, -1
; %bb.576:                              ;   in Loop: Header=BB0_266 Depth=3
	s_or_b32 exec_lo, exec_lo, s21
	s_delay_alu instid0(SALU_CYCLE_1)
	s_and_b32 s8, s8, exec_lo
                                        ; implicit-def: $vgpr160
	s_or_saveexec_b32 s20, s20
	v_mov_b32_e32 v22, s9
	s_xor_b32 exec_lo, exec_lo, s20
	s_cbranch_execz .LBB0_450
.LBB0_577:                              ;   in Loop: Header=BB0_266 Depth=3
	v_cmp_ne_u16_e64 vcc_lo, 0, v160
	v_mov_b32_e32 v22, 0
	s_and_not1_b32 s8, s8, exec_lo
	s_delay_alu instid0(VALU_DEP_2) | instskip(NEXT) | instid1(SALU_CYCLE_1)
	s_and_b32 s9, vcc_lo, exec_lo
	s_or_b32 s8, s8, s9
	s_or_b32 exec_lo, exec_lo, s20
	s_and_saveexec_b32 s9, s8
	s_cbranch_execnz .LBB0_451
	s_branch .LBB0_452
.LBB0_578:                              ;   in Loop: Header=BB0_266 Depth=3
	s_mov_b32 s8, -1
	s_mov_b32 s21, exec_lo
                                        ; implicit-def: $sgpr9
	v_cmpx_eq_u16_e64 0x80, v161
; %bb.579:                              ;   in Loop: Header=BB0_266 Depth=3
	s_mov_b32 s9, 0x7f800001
	s_xor_b32 s8, exec_lo, -1
; %bb.580:                              ;   in Loop: Header=BB0_266 Depth=3
	s_or_b32 exec_lo, exec_lo, s21
	s_delay_alu instid0(SALU_CYCLE_1)
	s_and_b32 s8, s8, exec_lo
	s_or_saveexec_b32 s20, s20
	v_mov_b32_e32 v160, s9
	s_xor_b32 exec_lo, exec_lo, s20
	s_cbranch_execz .LBB0_462
.LBB0_581:                              ;   in Loop: Header=BB0_266 Depth=3
	v_cmp_ne_u16_e64 vcc_lo, 0, v161
	v_mov_b32_e32 v160, 0
	s_and_not1_b32 s8, s8, exec_lo
	s_delay_alu instid0(VALU_DEP_2) | instskip(NEXT) | instid1(SALU_CYCLE_1)
	s_and_b32 s9, vcc_lo, exec_lo
	s_or_b32 s8, s8, s9
	s_or_b32 exec_lo, exec_lo, s20
	s_and_saveexec_b32 s9, s8
	s_cbranch_execnz .LBB0_463
	s_branch .LBB0_464
.LBB0_582:                              ;   in Loop: Header=BB0_266 Depth=3
	s_mov_b32 s8, -1
	s_mov_b32 s21, exec_lo
                                        ; implicit-def: $sgpr9
	v_cmpx_eq_u16_e64 0x80, v161
; %bb.583:                              ;   in Loop: Header=BB0_266 Depth=3
	s_mov_b32 s9, 0x7f800001
	s_xor_b32 s8, exec_lo, -1
; %bb.584:                              ;   in Loop: Header=BB0_266 Depth=3
	s_or_b32 exec_lo, exec_lo, s21
	s_delay_alu instid0(SALU_CYCLE_1)
	s_and_b32 s8, s8, exec_lo
	s_or_saveexec_b32 s20, s20
	v_mov_b32_e32 v162, s9
	s_xor_b32 exec_lo, exec_lo, s20
	s_cbranch_execz .LBB0_466
.LBB0_585:                              ;   in Loop: Header=BB0_266 Depth=3
	v_cmp_ne_u16_e64 vcc_lo, 0, v161
	v_mov_b32_e32 v162, 0
	s_and_not1_b32 s8, s8, exec_lo
	s_delay_alu instid0(VALU_DEP_2) | instskip(NEXT) | instid1(SALU_CYCLE_1)
	s_and_b32 s9, vcc_lo, exec_lo
	s_or_b32 s8, s8, s9
	s_or_b32 exec_lo, exec_lo, s20
	s_and_saveexec_b32 s9, s8
	s_cbranch_execnz .LBB0_467
	s_branch .LBB0_468
.LBB0_586:                              ;   in Loop: Header=BB0_266 Depth=3
	s_mov_b32 s8, -1
	s_mov_b32 s21, exec_lo
                                        ; implicit-def: $sgpr9
	v_cmpx_eq_u16_e64 0x80, v163
; %bb.587:                              ;   in Loop: Header=BB0_266 Depth=3
	s_mov_b32 s9, 0x7f800001
	s_xor_b32 s8, exec_lo, -1
; %bb.588:                              ;   in Loop: Header=BB0_266 Depth=3
	s_or_b32 exec_lo, exec_lo, s21
	s_delay_alu instid0(SALU_CYCLE_1)
	s_and_b32 s8, s8, exec_lo
                                        ; implicit-def: $vgpr163
	s_or_saveexec_b32 s20, s20
	v_mov_b32_e32 v161, s9
	s_xor_b32 exec_lo, exec_lo, s20
	s_cbranch_execz .LBB0_478
.LBB0_589:                              ;   in Loop: Header=BB0_266 Depth=3
	v_cmp_ne_u16_e64 vcc_lo, 0, v163
	v_mov_b32_e32 v161, 0
	s_and_not1_b32 s8, s8, exec_lo
	s_delay_alu instid0(VALU_DEP_2) | instskip(NEXT) | instid1(SALU_CYCLE_1)
	s_and_b32 s9, vcc_lo, exec_lo
	s_or_b32 s8, s8, s9
	s_or_b32 exec_lo, exec_lo, s20
	s_and_saveexec_b32 s9, s8
	s_cbranch_execnz .LBB0_479
	s_branch .LBB0_480
.LBB0_590:                              ;   in Loop: Header=BB0_266 Depth=3
	s_mov_b32 s8, -1
	s_mov_b32 s21, exec_lo
                                        ; implicit-def: $sgpr9
	v_cmpx_eq_u16_e32 0x80, v83
; %bb.591:                              ;   in Loop: Header=BB0_266 Depth=3
	s_mov_b32 s9, 0x7f800001
	s_xor_b32 s8, exec_lo, -1
; %bb.592:                              ;   in Loop: Header=BB0_266 Depth=3
	s_or_b32 exec_lo, exec_lo, s21
	s_delay_alu instid0(SALU_CYCLE_1)
	s_and_b32 s8, s8, exec_lo
                                        ; implicit-def: $vgpr83
	s_or_saveexec_b32 s20, s20
	v_mov_b32_e32 v162, s9
	s_xor_b32 exec_lo, exec_lo, s20
	s_cbranch_execz .LBB0_482
.LBB0_593:                              ;   in Loop: Header=BB0_266 Depth=3
	v_cmp_ne_u16_e32 vcc_lo, 0, v83
	v_mov_b32_e32 v162, 0
	s_and_not1_b32 s8, s8, exec_lo
	s_and_b32 s9, vcc_lo, exec_lo
	s_delay_alu instid0(SALU_CYCLE_1)
	s_or_b32 s8, s8, s9
	s_or_b32 exec_lo, exec_lo, s20
	v_lshl_or_b32 v83, v20, 16, v96
	s_and_saveexec_b32 s9, s8
	s_cbranch_execnz .LBB0_483
	s_branch .LBB0_484
.LBB0_594:                              ;   in Loop: Header=BB0_266 Depth=3
	s_mov_b32 s8, -1
	s_mov_b32 s21, exec_lo
                                        ; implicit-def: $sgpr9
	v_cmpx_eq_u16_e64 0x80, v161
; %bb.595:                              ;   in Loop: Header=BB0_266 Depth=3
	s_mov_b32 s9, 0x7f800001
	s_xor_b32 s8, exec_lo, -1
; %bb.596:                              ;   in Loop: Header=BB0_266 Depth=3
	s_or_b32 exec_lo, exec_lo, s21
	s_delay_alu instid0(SALU_CYCLE_1)
	s_and_b32 s8, s8, exec_lo
	s_or_saveexec_b32 s20, s20
	v_mov_b32_e32 v96, s9
	s_xor_b32 exec_lo, exec_lo, s20
	s_cbranch_execz .LBB0_494
.LBB0_597:                              ;   in Loop: Header=BB0_266 Depth=3
	v_cmp_ne_u16_e64 vcc_lo, 0, v161
	v_mov_b32_e32 v96, 0
	s_and_not1_b32 s8, s8, exec_lo
	s_delay_alu instid0(VALU_DEP_2) | instskip(NEXT) | instid1(SALU_CYCLE_1)
	s_and_b32 s9, vcc_lo, exec_lo
	s_or_b32 s8, s8, s9
	s_or_b32 exec_lo, exec_lo, s20
	s_and_saveexec_b32 s9, s8
	s_cbranch_execnz .LBB0_495
	s_branch .LBB0_496
.LBB0_598:                              ;   in Loop: Header=BB0_266 Depth=3
	s_mov_b32 s8, -1
	s_mov_b32 s21, exec_lo
                                        ; implicit-def: $sgpr9
	v_cmpx_eq_u16_e32 0x80, v21
; %bb.599:                              ;   in Loop: Header=BB0_266 Depth=3
	s_mov_b32 s9, 0x7f800001
	s_xor_b32 s8, exec_lo, -1
; %bb.600:                              ;   in Loop: Header=BB0_266 Depth=3
	s_or_b32 exec_lo, exec_lo, s21
	s_delay_alu instid0(SALU_CYCLE_1)
	s_and_b32 s8, s8, exec_lo
	s_or_saveexec_b32 s20, s20
	v_mov_b32_e32 v161, s9
	s_xor_b32 exec_lo, exec_lo, s20
	s_cbranch_execz .LBB0_498
.LBB0_601:                              ;   in Loop: Header=BB0_266 Depth=3
	v_cmp_ne_u16_e32 vcc_lo, 0, v21
	v_mov_b32_e32 v161, 0
	s_and_not1_b32 s8, s8, exec_lo
	s_and_b32 s9, vcc_lo, exec_lo
	s_delay_alu instid0(SALU_CYCLE_1)
	s_or_b32 s8, s8, s9
	s_or_b32 exec_lo, exec_lo, s20
	s_and_saveexec_b32 s9, s8
	s_cbranch_execnz .LBB0_499
	s_branch .LBB0_500
.LBB0_602:                              ;   in Loop: Header=BB0_221 Depth=2
	s_or_b32 exec_lo, exec_lo, s19
.LBB0_603:                              ;   in Loop: Header=BB0_221 Depth=2
	s_delay_alu instid0(SALU_CYCLE_1)
	s_or_b32 exec_lo, exec_lo, s18
	s_and_saveexec_b32 s8, s3
	s_cbranch_execz .LBB0_625
; %bb.604:                              ;   in Loop: Header=BB0_221 Depth=2
	s_and_saveexec_b32 s9, s4
	s_delay_alu instid0(SALU_CYCLE_1)
	s_xor_b32 s9, exec_lo, s9
	s_cbranch_execz .LBB0_622
; %bb.605:                              ;   in Loop: Header=BB0_221 Depth=2
	s_and_saveexec_b32 s18, s5
	s_cbranch_execz .LBB0_621
; %bb.606:                              ;   in Loop: Header=BB0_221 Depth=2
	s_mov_b32 s20, exec_lo
	s_mov_b32 s19, exec_lo
	v_mbcnt_lo_u32_b32 v17, s20, 0
	s_waitcnt vmcnt(0) lgkmcnt(0)
	s_waitcnt_vscnt null, 0x0
	buffer_gl1_inv
	buffer_gl0_inv
	v_cmpx_eq_u32_e32 0, v17
	s_cbranch_execz .LBB0_608
; %bb.607:                              ;   in Loop: Header=BB0_221 Depth=2
	s_bcnt1_i32_b32 s20, s20
	s_delay_alu instid0(SALU_CYCLE_1)
	v_mov_b32_e32 v54, s20
	ds_add_u64 v0, v[54:55]
	s_cbranch_execnz .LBB0_1074
.LBB0_608:                              ;   in Loop: Header=BB0_221 Depth=2
	s_or_b32 exec_lo, exec_lo, s19
	s_cbranch_execnz .LBB0_1066
; %bb.609:                              ;   in Loop: Header=BB0_221 Depth=2
	ds_load_b64 v[17:18], v0
	v_add_co_u32 v2, vcc_lo, v2, v101
	v_add_co_ci_u32_e32 v3, vcc_lo, v3, v112, vcc_lo
	s_mov_b32 s19, exec_lo
	s_waitcnt lgkmcnt(0)
	s_delay_alu instid0(VALU_DEP_1)
	v_cmpx_lt_u64_e64 v[17:18], v[2:3]
	s_cbranch_execz .LBB0_620
; %bb.610:                              ;   in Loop: Header=BB0_221 Depth=2
	s_mov_b32 s20, 0
	s_mov_b32 s23, 0
                                        ; implicit-def: $sgpr21
                                        ; implicit-def: $sgpr22
	s_branch .LBB0_612
.LBB0_611:                              ;   in Loop: Header=BB0_612 Depth=3
	s_or_b32 exec_lo, exec_lo, s26
	s_delay_alu instid0(SALU_CYCLE_1) | instskip(NEXT) | instid1(SALU_CYCLE_1)
	s_and_b32 s24, exec_lo, s25
	s_or_b32 s20, s24, s20
	s_and_not1_b32 s21, s21, exec_lo
	s_and_b32 s24, s22, exec_lo
	s_delay_alu instid0(SALU_CYCLE_1)
	s_or_b32 s21, s21, s24
	s_and_not1_b32 exec_lo, exec_lo, s20
	s_cbranch_execz .LBB0_618
.LBB0_612:                              ;   Parent Loop BB0_40 Depth=1
                                        ;     Parent Loop BB0_221 Depth=2
                                        ; =>    This Inner Loop Header: Depth=3
	s_add_i32 s23, s23, 1
                                        ; implicit-def: $sgpr25
	s_delay_alu instid0(SALU_CYCLE_1) | instskip(SKIP_1) | instid1(SALU_CYCLE_1)
	s_cmpk_lg_i32 s23, 0x2710
	s_cselect_b32 s24, -1, 0
	s_and_b32 vcc_lo, exec_lo, s24
	s_cbranch_vccz .LBB0_616
.LBB0_613:                              ;   in Loop: Header=BB0_612 Depth=3
	s_and_not1_b32 s22, s22, exec_lo
	s_and_b32 s26, s25, exec_lo
	s_mov_b32 s25, -1
	s_or_b32 s22, s22, s26
	s_and_saveexec_b32 s26, s24
	s_cbranch_execz .LBB0_611
; %bb.614:                              ;   in Loop: Header=BB0_612 Depth=3
	s_sleep 1
	s_cbranch_execnz .LBB0_1086
; %bb.615:                              ;   in Loop: Header=BB0_612 Depth=3
	ds_load_b64 v[17:18], v0
	s_and_not1_b32 s22, s22, exec_lo
	s_waitcnt lgkmcnt(0)
	v_cmp_ge_u64_e32 vcc_lo, v[17:18], v[2:3]
	s_or_not1_b32 s25, vcc_lo, exec_lo
	s_branch .LBB0_611
.LBB0_616:                              ;   in Loop: Header=BB0_612 Depth=3
	s_cbranch_execnz .LBB0_1088
; %bb.617:                              ;   in Loop: Header=BB0_612 Depth=3
	ds_load_b64 v[17:18], v0
	s_and_not1_b32 s24, s24, exec_lo
	s_mov_b32 s23, 0
	s_mov_b32 s25, -1
	s_waitcnt lgkmcnt(0)
	flat_load_b32 v17, v[17:18] glc
	s_waitcnt vmcnt(0) lgkmcnt(0)
	buffer_gl1_inv
	buffer_gl0_inv
	v_cmp_eq_u32_e32 vcc_lo, 0, v17
	s_and_b32 s26, vcc_lo, exec_lo
	s_delay_alu instid0(SALU_CYCLE_1)
	s_or_b32 s24, s24, s26
	s_branch .LBB0_613
.LBB0_618:                              ;   in Loop: Header=BB0_221 Depth=2
	s_or_b32 exec_lo, exec_lo, s20
	s_and_saveexec_b32 s20, s21
	s_delay_alu instid0(SALU_CYCLE_1)
	s_xor_b32 s20, exec_lo, s20
	s_cbranch_execz .LBB0_620
; %bb.619:                              ;   in Loop: Header=BB0_221 Depth=2
	ds_store_b32 v0, v130
	s_cbranch_execnz .LBB0_1107
.LBB0_620:                              ;   in Loop: Header=BB0_221 Depth=2
	s_or_b32 exec_lo, exec_lo, s19
	;;#ASMSTART
	s_wakeup
	;;#ASMEND
.LBB0_621:                              ;   in Loop: Header=BB0_221 Depth=2
	s_or_b32 exec_lo, exec_lo, s18
.LBB0_622:                              ;   in Loop: Header=BB0_221 Depth=2
	s_and_not1_saveexec_b32 s9, s9
	s_cbranch_execz .LBB0_624
; %bb.623:                              ;   in Loop: Header=BB0_221 Depth=2
	s_waitcnt vmcnt(0) lgkmcnt(0)
	s_waitcnt_vscnt null, 0x0
	buffer_gl1_inv
	buffer_gl0_inv
	s_barrier
.LBB0_624:                              ;   in Loop: Header=BB0_221 Depth=2
	s_or_b32 exec_lo, exec_lo, s9
.LBB0_625:                              ;   in Loop: Header=BB0_221 Depth=2
	s_delay_alu instid0(SALU_CYCLE_1)
	s_or_b32 exec_lo, exec_lo, s8
	s_and_saveexec_b32 s8, s6
	s_cbranch_execz .LBB0_627
; %bb.626:                              ;   in Loop: Header=BB0_221 Depth=2
	v_add_co_u32 v48, vcc_lo, v48, 1
	v_add_co_ci_u32_e32 v49, vcc_lo, 0, v49, vcc_lo
	s_waitcnt vmcnt(0) lgkmcnt(0)
	s_waitcnt_vscnt null, 0x0
	flat_store_b64 v[36:37], v[48:49]
.LBB0_627:                              ;   in Loop: Header=BB0_221 Depth=2
	s_or_b32 exec_lo, exec_lo, s8
	v_and_b32_e32 v54, 0x7ffffff8, v70
	v_cmp_gt_i32_e64 s8, s14, v82
	s_delay_alu instid0(VALU_DEP_2) | instskip(NEXT) | instid1(VALU_DEP_2)
	v_cmp_eq_u64_e32 vcc_lo, 0x7ffffff8, v[54:55]
	s_and_b32 s8, vcc_lo, s8
	s_delay_alu instid0(SALU_CYCLE_1)
	s_and_saveexec_b32 s9, s8
	s_cbranch_execz .LBB0_630
; %bb.628:                              ;   in Loop: Header=BB0_221 Depth=2
	v_and_b32_e32 v17, 7, v144
	v_ashrrev_i32_e32 v83, 31, v82
	v_mov_b32_e32 v21, v70
	s_mov_b32 s18, 0
	s_delay_alu instid0(VALU_DEP_3) | instskip(SKIP_2) | instid1(VALU_DEP_2)
	v_mul_lo_u32 v17, s14, v17
	s_waitcnt vmcnt(0) lgkmcnt(0)
	v_lshlrev_b64 v[19:20], 4, v[82:83]
	v_ashrrev_i32_e32 v18, 31, v17
	s_delay_alu instid0(VALU_DEP_1) | instskip(NEXT) | instid1(VALU_DEP_1)
	v_lshlrev_b64 v[17:18], 4, v[17:18]
	v_add_co_u32 v19, vcc_lo, v19, v17
	s_delay_alu instid0(VALU_DEP_2) | instskip(SKIP_2) | instid1(VALU_DEP_4)
	v_add_co_ci_u32_e32 v20, vcc_lo, v20, v18, vcc_lo
	v_add_co_u32 v17, vcc_lo, 0, 0
	v_add_co_ci_u32_e32 v18, vcc_lo, 1, v21, vcc_lo
	v_add_co_u32 v21, vcc_lo, v38, v19
	s_delay_alu instid0(VALU_DEP_4)
	v_add_co_ci_u32_e32 v22, vcc_lo, v39, v20, vcc_lo
.LBB0_629:                              ;   Parent Loop BB0_40 Depth=1
                                        ;     Parent Loop BB0_221 Depth=2
                                        ; =>    This Inner Loop Header: Depth=3
	s_delay_alu instid0(VALU_DEP_4) | instskip(NEXT) | instid1(VALU_DEP_4)
	v_dual_mov_b32 v19, v17 :: v_dual_add_nc_u32 v82, v82, v1
	v_mov_b32_e32 v20, v18
	s_delay_alu instid0(VALU_DEP_2) | instskip(SKIP_2) | instid1(VALU_DEP_1)
	v_cmp_le_i32_e32 vcc_lo, s14, v82
	global_store_b128 v[21:22], v[17:20], off
	v_add_co_u32 v21, s8, v21, v68
	v_add_co_ci_u32_e64 v22, s8, v22, v69, s8
	s_or_b32 s18, vcc_lo, s18
	s_delay_alu instid0(SALU_CYCLE_1)
	s_and_not1_b32 exec_lo, exec_lo, s18
	s_cbranch_execnz .LBB0_629
.LBB0_630:                              ;   in Loop: Header=BB0_221 Depth=2
	s_or_b32 exec_lo, exec_lo, s9
	v_add_co_u32 v32, vcc_lo, v32, 1
	v_add_co_ci_u32_e32 v33, vcc_lo, 0, v33, vcc_lo
	v_add_co_u32 v70, vcc_lo, v70, 1
	v_add_co_ci_u32_e32 v71, vcc_lo, 0, v71, vcc_lo
	v_add_nc_u16 v144, v144, 1
	s_add_i32 s17, s17, 1
	s_delay_alu instid0(SALU_CYCLE_1)
	s_cmp_eq_u32 s17, s10
	s_cbranch_scc0 .LBB0_221
.LBB0_631:                              ;   in Loop: Header=BB0_40 Depth=1
	s_delay_alu instid0(VALU_DEP_1)
	v_dual_mov_b32 v21, v70 :: v_dual_mov_b32 v22, v71
	s_and_saveexec_b32 s9, s7
	s_cbranch_execz .LBB0_991
; %bb.632:                              ;   in Loop: Header=BB0_40 Depth=1
	flat_load_b32 v54, v[23:24]
	v_and_b32_e32 v17, 7, v32
	s_waitcnt vmcnt(1) lgkmcnt(1)
	v_add_co_u32 v19, vcc_lo, v11, v134
	v_add_co_ci_u32_e32 v20, vcc_lo, v12, v135, vcc_lo
	s_delay_alu instid0(VALU_DEP_3) | instskip(SKIP_1) | instid1(VALU_DEP_1)
	v_mul_lo_u32 v17, v17, s14
	s_mov_b32 s17, 0
	v_ashrrev_i32_e32 v18, 31, v17
	s_delay_alu instid0(VALU_DEP_1)
	v_lshlrev_b64 v[17:18], 4, v[17:18]
	s_waitcnt vmcnt(0) lgkmcnt(0)
	v_ashrrev_i32_e32 v70, 31, v54
	v_mul_lo_u32 v82, v100, v54
	v_mad_u64_u32 v[80:81], null, v99, v54, v[19:20]
	v_add_nc_u32_e32 v54, 1, v32
	s_delay_alu instid0(VALU_DEP_4)
	v_mul_lo_u32 v19, v99, v70
	v_add_co_u32 v70, vcc_lo, v117, v134
	v_add_co_ci_u32_e32 v71, vcc_lo, v118, v135, vcc_lo
	v_add_co_u32 v83, vcc_lo, v29, v17
	v_add_co_ci_u32_e32 v84, vcc_lo, v30, v18, vcc_lo
	v_add3_u32 v19, v82, v81, v19
	v_add_co_u32 v85, vcc_lo, v80, v102
	v_mov_b32_e32 v80, v4
	s_delay_alu instid0(VALU_DEP_3)
	v_add_co_ci_u32_e32 v86, vcc_lo, v19, v113, vcc_lo
	s_branch .LBB0_634
.LBB0_633:                              ;   in Loop: Header=BB0_634 Depth=2
	v_sub_nc_u32_e32 v132, v132, v103
	v_add_co_u32 v85, vcc_lo, v85, v103
	v_add_co_ci_u32_e32 v86, vcc_lo, v86, v114, vcc_lo
	s_delay_alu instid0(VALU_DEP_3) | instskip(SKIP_1) | instid1(VALU_DEP_1)
	v_cmp_gt_i32_e32 vcc_lo, 1, v132
	v_add_co_u32 v70, s7, v70, v103
	v_add_co_ci_u32_e64 v71, s7, v71, v114, s7
	v_add_nc_u32_e32 v80, v80, v1
	s_or_b32 s17, vcc_lo, s17
	s_delay_alu instid0(SALU_CYCLE_1)
	s_and_not1_b32 exec_lo, exec_lo, s17
	s_cbranch_execz .LBB0_990
.LBB0_634:                              ;   Parent Loop BB0_40 Depth=1
                                        ; =>  This Loop Header: Depth=2
                                        ;       Child Loop BB0_642 Depth 3
	s_delay_alu instid0(VALU_DEP_1)
	v_dual_mov_b32 v18, v86 :: v_dual_and_b32 v17, -4, v85
	v_min_u32_e32 v19, 8, v132
	v_dual_mov_b32 v87, 0 :: v_dual_and_b32 v20, 3, v85
	v_mov_b32_e32 v133, 0
	flat_load_b32 v96, v[17:18] glc
	v_add_co_u32 v19, s7, v20, v19
	s_delay_alu instid0(VALU_DEP_1) | instskip(SKIP_1) | instid1(VALU_DEP_1)
	v_add_co_ci_u32_e64 v20, null, 0, 0, s7
	s_mov_b32 s7, exec_lo
	v_cmpx_lt_u64_e32 4, v[19:20]
	s_cbranch_execz .LBB0_636
; %bb.635:                              ;   in Loop: Header=BB0_634 Depth=2
	flat_load_b32 v133, v[17:18] offset:4 glc
.LBB0_636:                              ;   in Loop: Header=BB0_634 Depth=2
	s_or_b32 exec_lo, exec_lo, s7
	s_delay_alu instid0(SALU_CYCLE_1)
	s_mov_b32 s7, exec_lo
	v_cmpx_lt_u64_e32 8, v[19:20]
	s_cbranch_execz .LBB0_638
; %bb.637:                              ;   in Loop: Header=BB0_634 Depth=2
	flat_load_b32 v87, v[17:18] offset:8 glc
.LBB0_638:                              ;   in Loop: Header=BB0_634 Depth=2
	s_or_b32 exec_lo, exec_lo, s7
	v_ashrrev_i32_e32 v81, 31, v80
	s_delay_alu instid0(VALU_DEP_1) | instskip(NEXT) | instid1(VALU_DEP_1)
	v_lshlrev_b64 v[17:18], 4, v[80:81]
	v_add_co_u32 v81, vcc_lo, v83, v17
	s_delay_alu instid0(VALU_DEP_2)
	v_add_co_ci_u32_e32 v82, vcc_lo, v84, v18, vcc_lo
	v_cmp_eq_u32_e32 vcc_lo, 0, v131
	;;#ASMSTART
	global_load_b128 v[17:20], v[81:82], off glc slc dlc
s_waitcnt vmcnt(0)

	;;#ASMEND
	s_and_saveexec_b32 s18, vcc_lo
	s_cbranch_execz .LBB0_652
; %bb.639:                              ;   in Loop: Header=BB0_634 Depth=2
	v_cmp_ne_u32_e64 s7, v54, v18
	v_cmp_ne_u32_e64 s8, v54, v20
	v_mov_b32_e32 v131, 0
	s_delay_alu instid0(VALU_DEP_2) | instskip(NEXT) | instid1(SALU_CYCLE_1)
	s_or_b32 s7, s7, s8
	s_and_saveexec_b32 s8, s7
	s_cbranch_execz .LBB0_651
; %bb.640:                              ;   in Loop: Header=BB0_634 Depth=2
	v_cndmask_b32_e64 v97, 0, 1, vcc_lo
	s_mov_b32 s19, 0
                                        ; implicit-def: $sgpr20
                                        ; implicit-def: $sgpr21
	s_branch .LBB0_642
.LBB0_641:                              ;   in Loop: Header=BB0_642 Depth=3
	s_or_b32 exec_lo, exec_lo, s22
	s_delay_alu instid0(SALU_CYCLE_1) | instskip(NEXT) | instid1(SALU_CYCLE_1)
	s_and_b32 s7, exec_lo, s7
	s_or_b32 s19, s7, s19
	s_and_not1_b32 s7, s20, exec_lo
	s_and_b32 s20, s21, exec_lo
	s_delay_alu instid0(SALU_CYCLE_1)
	s_or_b32 s20, s7, s20
	s_and_not1_b32 exec_lo, exec_lo, s19
	s_cbranch_execz .LBB0_650
.LBB0_642:                              ;   Parent Loop BB0_40 Depth=1
                                        ;     Parent Loop BB0_634 Depth=2
                                        ; =>    This Inner Loop Header: Depth=3
	s_delay_alu instid0(VALU_DEP_1)
	v_add_nc_u32_e32 v97, 1, v97
	v_mov_b32_e32 v131, 0
	s_mov_b32 s7, -1
	s_mov_b32 s23, -1
	s_mov_b32 s22, exec_lo
	;;#ASMSTART
	global_load_b128 v[17:20], v[81:82], off glc slc dlc
s_waitcnt vmcnt(0)

	;;#ASMEND
	v_cmpx_eq_u32_e32 0x2710, v97
	s_cbranch_execz .LBB0_648
; %bb.643:                              ;   in Loop: Header=BB0_642 Depth=3
	s_cbranch_execnz .LBB0_1033
; %bb.644:                              ;   in Loop: Header=BB0_642 Depth=3
	ds_load_b64 v[134:135], v0
	v_mov_b32_e32 v97, 0
	v_mov_b32_e32 v131, 0
	s_mov_b32 s24, -1
	s_mov_b32 s23, exec_lo
	s_waitcnt vmcnt(0) lgkmcnt(0)
	s_waitcnt_vscnt null, 0x0
	flat_load_b32 v134, v[134:135] glc
	s_waitcnt vmcnt(0) lgkmcnt(0)
	buffer_gl1_inv
	buffer_gl0_inv
	v_cmpx_ne_u32_e32 0, v134
	s_cbranch_execz .LBB0_647
; %bb.645:                              ;   in Loop: Header=BB0_642 Depth=3
	ds_store_b32 v0, v134
	s_cbranch_execnz .LBB0_1045
; %bb.646:                              ;   in Loop: Header=BB0_642 Depth=3
	v_mov_b32_e32 v131, 1
	s_xor_b32 s24, exec_lo, -1
.LBB0_647:                              ;   in Loop: Header=BB0_642 Depth=3
	s_or_b32 exec_lo, exec_lo, s23
	s_delay_alu instid0(SALU_CYCLE_1)
	s_or_not1_b32 s23, s24, exec_lo
.LBB0_648:                              ;   in Loop: Header=BB0_642 Depth=3
	s_or_b32 exec_lo, exec_lo, s22
	s_delay_alu instid0(SALU_CYCLE_1)
	s_or_b32 s21, s21, exec_lo
	s_and_saveexec_b32 s22, s23
	s_cbranch_execz .LBB0_641
; %bb.649:                              ;   in Loop: Header=BB0_642 Depth=3
	v_cmp_eq_u32_e32 vcc_lo, v54, v18
	v_cmp_eq_u32_e64 s7, v54, v20
	s_and_not1_b32 s21, s21, exec_lo
	s_delay_alu instid0(VALU_DEP_1) | instskip(NEXT) | instid1(SALU_CYCLE_1)
	s_and_b32 s7, vcc_lo, s7
	s_or_not1_b32 s7, s7, exec_lo
	s_branch .LBB0_641
.LBB0_650:                              ;   in Loop: Header=BB0_634 Depth=2
	s_or_b32 exec_lo, exec_lo, s19
	s_xor_b32 s7, s20, -1
	s_delay_alu instid0(SALU_CYCLE_1) | instskip(NEXT) | instid1(SALU_CYCLE_1)
	s_and_saveexec_b32 s19, s7
	s_xor_b32 s7, exec_lo, s19
	s_delay_alu instid0(SALU_CYCLE_1) | instskip(NEXT) | instid1(SALU_CYCLE_1)
	s_and_not1_saveexec_b32 s7, s7
	s_or_b32 exec_lo, exec_lo, s7
.LBB0_651:                              ;   in Loop: Header=BB0_634 Depth=2
	s_delay_alu instid0(SALU_CYCLE_1)
	s_or_b32 exec_lo, exec_lo, s8
.LBB0_652:                              ;   in Loop: Header=BB0_634 Depth=2
	s_delay_alu instid0(SALU_CYCLE_1) | instskip(SKIP_4) | instid1(VALU_DEP_1)
	s_or_b32 exec_lo, exec_lo, s18
	v_lshlrev_b32_e32 v18, 3, v85
	s_mov_b32 s7, 0
	s_mov_b32 s18, exec_lo
                                        ; implicit-def: $sgpr8
	s_waitcnt vmcnt(0) lgkmcnt(0)
	v_alignbit_b32 v81, v133, v96, v18
	s_delay_alu instid0(VALU_DEP_1) | instskip(NEXT) | instid1(VALU_DEP_1)
	v_and_b32_e32 v82, 0xff, v81
	v_cmpx_lt_i16_e32 0x7f, v82
	s_xor_b32 s18, exec_lo, s18
	s_cbranch_execnz .LBB0_894
; %bb.653:                              ;   in Loop: Header=BB0_634 Depth=2
	s_or_saveexec_b32 s18, s18
	v_mov_b32_e32 v20, s8
	s_xor_b32 exec_lo, exec_lo, s18
	s_cbranch_execnz .LBB0_897
.LBB0_654:                              ;   in Loop: Header=BB0_634 Depth=2
	s_or_b32 exec_lo, exec_lo, s18
	s_and_saveexec_b32 s8, s7
	s_cbranch_execz .LBB0_656
.LBB0_655:                              ;   in Loop: Header=BB0_634 Depth=2
	v_and_b32_e32 v20, 7, v81
	v_bfe_u32 v97, v81, 3, 4
	v_lshlrev_b32_e32 v134, 24, v81
	s_delay_alu instid0(VALU_DEP_3) | instskip(NEXT) | instid1(VALU_DEP_3)
	v_clz_i32_u32_e32 v82, v20
	v_cmp_eq_u32_e32 vcc_lo, 0, v97
	s_delay_alu instid0(VALU_DEP_2) | instskip(NEXT) | instid1(VALU_DEP_1)
	v_min_u32_e32 v82, 32, v82
	v_subrev_nc_u32_e32 v96, 28, v82
	v_sub_nc_u32_e32 v82, 29, v82
	s_delay_alu instid0(VALU_DEP_2) | instskip(NEXT) | instid1(VALU_DEP_2)
	v_lshlrev_b32_e32 v96, v96, v81
	v_cndmask_b32_e32 v82, v97, v82, vcc_lo
	s_delay_alu instid0(VALU_DEP_2) | instskip(NEXT) | instid1(VALU_DEP_2)
	v_and_b32_e32 v96, 7, v96
	v_lshl_add_u32 v82, v82, 23, 0x3b800000
	s_delay_alu instid0(VALU_DEP_2) | instskip(SKIP_1) | instid1(VALU_DEP_2)
	v_cndmask_b32_e32 v20, v20, v96, vcc_lo
	v_and_b32_e32 v96, 0x80000000, v134
	v_lshlrev_b32_e32 v20, 20, v20
	s_delay_alu instid0(VALU_DEP_1)
	v_or3_b32 v20, v96, v82, v20
.LBB0_656:                              ;   in Loop: Header=BB0_634 Depth=2
	s_or_b32 exec_lo, exec_lo, s8
	s_delay_alu instid0(VALU_DEP_1) | instskip(NEXT) | instid1(VALU_DEP_1)
	v_mul_f32_e32 v82, v0, v20
	v_and_b32_e32 v20, 0x7f800000, v82
	s_delay_alu instid0(VALU_DEP_1)
	v_cmp_ne_u32_e32 vcc_lo, 0x7f800000, v20
	v_mov_b32_e32 v20, 0x80
	s_and_saveexec_b32 s8, vcc_lo
	s_cbranch_execz .LBB0_664
; %bb.657:                              ;   in Loop: Header=BB0_634 Depth=2
	v_mov_b32_e32 v20, 0
	s_mov_b32 s18, exec_lo
	v_cmpx_ne_u32_e32 0, v82
	s_cbranch_execz .LBB0_663
; %bb.658:                              ;   in Loop: Header=BB0_634 Depth=2
	v_bfe_u32 v20, v82, 23, 8
	s_delay_alu instid0(VALU_DEP_1) | instskip(SKIP_1) | instid1(VALU_DEP_2)
	v_sub_nc_u32_e32 v97, 0x78, v20
	v_cmp_gt_u32_e32 vcc_lo, 0x79, v20
	v_dual_cndmask_b32 v97, 0, v97 :: v_dual_and_b32 v96, 0x7fffff, v82
	s_delay_alu instid0(VALU_DEP_1) | instskip(SKIP_2) | instid1(VALU_DEP_4)
	v_or_b32_e32 v134, 0x800000, v96
	v_cmp_eq_u32_e32 vcc_lo, 0, v20
	v_add_nc_u32_e32 v20, 0xffffff89, v20
	v_cndmask_b32_e64 v97, v97, 0x77, vcc_lo
	s_delay_alu instid0(VALU_DEP_4) | instskip(NEXT) | instid1(VALU_DEP_3)
	v_cndmask_b32_e32 v96, v134, v96, vcc_lo
	v_cndmask_b32_e64 v20, v20, 0xffffff8a, vcc_lo
	s_delay_alu instid0(VALU_DEP_3) | instskip(NEXT) | instid1(VALU_DEP_3)
	v_lshl_add_u32 v134, 0x100000, v97, -1
	v_lshrrev_b32_e32 v135, v97, v96
	v_lshlrev_b32_e64 v145, v97, 0x80000
	s_delay_alu instid0(VALU_DEP_4) | instskip(NEXT) | instid1(VALU_DEP_4)
	v_add_nc_u32_e32 v97, v97, v20
	v_and_b32_e32 v96, v134, v96
	s_delay_alu instid0(VALU_DEP_4) | instskip(NEXT) | instid1(VALU_DEP_2)
	v_bfe_u32 v144, v135, 20, 1
	v_cmp_eq_u32_e64 s7, v96, v145
	s_delay_alu instid0(VALU_DEP_2) | instskip(NEXT) | instid1(VALU_DEP_1)
	v_add_nc_u32_e32 v134, -1, v144
	v_cndmask_b32_e64 v96, 0, v134, s7
	v_lshrrev_b32_e32 v134, 23, v135
	s_mov_b32 s7, exec_lo
	s_delay_alu instid0(VALU_DEP_2) | instskip(NEXT) | instid1(VALU_DEP_2)
	v_add_nc_u32_e32 v96, v96, v135
	v_xor_b32_e32 v134, 1, v134
	s_delay_alu instid0(VALU_DEP_2) | instskip(NEXT) | instid1(VALU_DEP_1)
	v_and_b32_e32 v20, 0xfffff, v96
	v_add_nc_u32_e32 v96, v20, v135
                                        ; implicit-def: $vgpr20
	s_delay_alu instid0(VALU_DEP_3)
	v_cmpx_ne_u32_e64 v97, v134
	s_xor_b32 s7, exec_lo, s7
; %bb.659:                              ;   in Loop: Header=BB0_634 Depth=2
	s_delay_alu instid0(VALU_DEP_2) | instskip(SKIP_2) | instid1(VALU_DEP_2)
	v_cmp_lt_u32_e32 vcc_lo, 0xffffff, v96
	v_sub_nc_u32_e32 v20, v97, v134
	v_cndmask_b32_e64 v97, 0, 1, vcc_lo
	v_add_co_ci_u32_e32 v20, vcc_lo, 0, v20, vcc_lo
	s_delay_alu instid0(VALU_DEP_2)
	v_lshrrev_b32_e32 v96, v97, v96
; %bb.660:                              ;   in Loop: Header=BB0_634 Depth=2
	s_and_not1_saveexec_b32 s7, s7
; %bb.661:                              ;   in Loop: Header=BB0_634 Depth=2
	s_delay_alu instid0(VALU_DEP_1)
	v_bfe_u32 v20, v96, 23, 1
; %bb.662:                              ;   in Loop: Header=BB0_634 Depth=2
	s_or_b32 exec_lo, exec_lo, s7
	v_lshrrev_b32_e32 v96, 20, v96
	s_delay_alu instid0(VALU_DEP_2) | instskip(SKIP_2) | instid1(VALU_DEP_4)
	v_cmp_gt_i32_e32 vcc_lo, 16, v20
	v_lshrrev_b32_e32 v82, 24, v82
	v_min_i32_e32 v97, 15, v20
	v_cndmask_b32_e32 v96, 7, v96, vcc_lo
	s_delay_alu instid0(VALU_DEP_3) | instskip(NEXT) | instid1(VALU_DEP_3)
	v_and_b32_e32 v82, 0x80, v82
	v_lshlrev_b32_e32 v97, 3, v97
	s_delay_alu instid0(VALU_DEP_3) | instskip(SKIP_1) | instid1(VALU_DEP_2)
	v_and_b32_e32 v134, 7, v96
	v_or_b32_e32 v20, v20, v96
	v_or3_b32 v82, v97, v82, v134
	s_delay_alu instid0(VALU_DEP_2) | instskip(NEXT) | instid1(VALU_DEP_2)
	v_cmp_ne_u32_e32 vcc_lo, 0, v20
	v_cndmask_b32_e32 v20, 0, v82, vcc_lo
.LBB0_663:                              ;   in Loop: Header=BB0_634 Depth=2
	s_or_b32 exec_lo, exec_lo, s18
.LBB0_664:                              ;   in Loop: Header=BB0_634 Depth=2
	s_delay_alu instid0(SALU_CYCLE_1) | instskip(SKIP_3) | instid1(VALU_DEP_1)
	s_or_b32 exec_lo, exec_lo, s8
	v_lshrrev_b16 v82, 8, v81
	s_mov_b32 s7, 0
	s_mov_b32 s18, exec_lo
                                        ; implicit-def: $sgpr8
	v_cmpx_lt_i16_e32 0x7f, v82
	s_xor_b32 s18, exec_lo, s18
	s_cbranch_execnz .LBB0_898
; %bb.665:                              ;   in Loop: Header=BB0_634 Depth=2
	s_or_saveexec_b32 s18, s18
	v_mov_b32_e32 v96, s8
	s_xor_b32 exec_lo, exec_lo, s18
	s_cbranch_execnz .LBB0_901
.LBB0_666:                              ;   in Loop: Header=BB0_634 Depth=2
	s_or_b32 exec_lo, exec_lo, s18
	s_and_saveexec_b32 s8, s7
	s_cbranch_execz .LBB0_668
.LBB0_667:                              ;   in Loop: Header=BB0_634 Depth=2
	v_and_b32_e32 v96, 0xffff, v82
	v_lshlrev_b32_e32 v82, 24, v82
	s_delay_alu instid0(VALU_DEP_2) | instskip(NEXT) | instid1(VALU_DEP_2)
	v_and_b32_e32 v97, 7, v96
	v_and_b32_e32 v82, 0x80000000, v82
	s_delay_alu instid0(VALU_DEP_2) | instskip(NEXT) | instid1(VALU_DEP_1)
	v_clz_i32_u32_e32 v134, v97
	v_min_u32_e32 v134, 32, v134
	s_delay_alu instid0(VALU_DEP_1) | instskip(SKIP_1) | instid1(VALU_DEP_2)
	v_subrev_nc_u32_e32 v135, 28, v134
	v_sub_nc_u32_e32 v134, 29, v134
	v_lshlrev_b32_e32 v135, v135, v96
	v_bfe_u32 v96, v96, 3, 4
	s_delay_alu instid0(VALU_DEP_2) | instskip(NEXT) | instid1(VALU_DEP_2)
	v_and_b32_e32 v135, 7, v135
	v_cmp_eq_u32_e32 vcc_lo, 0, v96
	s_delay_alu instid0(VALU_DEP_2) | instskip(NEXT) | instid1(VALU_DEP_1)
	v_dual_cndmask_b32 v96, v96, v134 :: v_dual_cndmask_b32 v97, v97, v135
	v_lshl_add_u32 v96, v96, 23, 0x3b800000
	s_delay_alu instid0(VALU_DEP_2) | instskip(NEXT) | instid1(VALU_DEP_1)
	v_lshlrev_b32_e32 v97, 20, v97
	v_or3_b32 v96, v82, v96, v97
.LBB0_668:                              ;   in Loop: Header=BB0_634 Depth=2
	s_or_b32 exec_lo, exec_lo, s8
	s_delay_alu instid0(VALU_DEP_1) | instskip(NEXT) | instid1(VALU_DEP_1)
	v_mul_f32_e32 v96, v0, v96
	v_and_b32_e32 v82, 0x7f800000, v96
	s_delay_alu instid0(VALU_DEP_1)
	v_cmp_ne_u32_e32 vcc_lo, 0x7f800000, v82
	v_mov_b32_e32 v82, 0x80
	s_and_saveexec_b32 s8, vcc_lo
	s_cbranch_execz .LBB0_676
; %bb.669:                              ;   in Loop: Header=BB0_634 Depth=2
	v_mov_b32_e32 v82, 0
	s_mov_b32 s18, exec_lo
	v_cmpx_ne_u32_e32 0, v96
	s_cbranch_execz .LBB0_675
; %bb.670:                              ;   in Loop: Header=BB0_634 Depth=2
	v_bfe_u32 v82, v96, 23, 8
	s_delay_alu instid0(VALU_DEP_1) | instskip(SKIP_1) | instid1(VALU_DEP_2)
	v_sub_nc_u32_e32 v134, 0x78, v82
	v_cmp_gt_u32_e32 vcc_lo, 0x79, v82
	v_dual_cndmask_b32 v134, 0, v134 :: v_dual_and_b32 v97, 0x7fffff, v96
	s_delay_alu instid0(VALU_DEP_1) | instskip(SKIP_2) | instid1(VALU_DEP_4)
	v_or_b32_e32 v135, 0x800000, v97
	v_cmp_eq_u32_e32 vcc_lo, 0, v82
	v_add_nc_u32_e32 v82, 0xffffff89, v82
	v_cndmask_b32_e64 v134, v134, 0x77, vcc_lo
	s_delay_alu instid0(VALU_DEP_4) | instskip(NEXT) | instid1(VALU_DEP_3)
	v_cndmask_b32_e32 v97, v135, v97, vcc_lo
	v_cndmask_b32_e64 v82, v82, 0xffffff8a, vcc_lo
	s_delay_alu instid0(VALU_DEP_3) | instskip(NEXT) | instid1(VALU_DEP_3)
	v_lshl_add_u32 v135, 0x100000, v134, -1
	v_lshrrev_b32_e32 v144, v134, v97
	v_lshlrev_b32_e64 v146, v134, 0x80000
	s_delay_alu instid0(VALU_DEP_4) | instskip(NEXT) | instid1(VALU_DEP_4)
	v_add_nc_u32_e32 v134, v134, v82
	v_and_b32_e32 v97, v135, v97
	s_delay_alu instid0(VALU_DEP_4) | instskip(NEXT) | instid1(VALU_DEP_2)
	v_bfe_u32 v145, v144, 20, 1
	v_cmp_eq_u32_e64 s7, v97, v146
	s_delay_alu instid0(VALU_DEP_2) | instskip(NEXT) | instid1(VALU_DEP_1)
	v_add_nc_u32_e32 v135, -1, v145
	v_cndmask_b32_e64 v97, 0, v135, s7
	v_lshrrev_b32_e32 v135, 23, v144
	s_mov_b32 s7, exec_lo
	s_delay_alu instid0(VALU_DEP_2) | instskip(NEXT) | instid1(VALU_DEP_2)
	v_add_nc_u32_e32 v97, v97, v144
	v_xor_b32_e32 v135, 1, v135
	s_delay_alu instid0(VALU_DEP_2) | instskip(NEXT) | instid1(VALU_DEP_1)
	v_and_b32_e32 v82, 0xfffff, v97
	v_add_nc_u32_e32 v97, v82, v144
                                        ; implicit-def: $vgpr82
	s_delay_alu instid0(VALU_DEP_3)
	v_cmpx_ne_u32_e64 v134, v135
	s_xor_b32 s7, exec_lo, s7
; %bb.671:                              ;   in Loop: Header=BB0_634 Depth=2
	s_delay_alu instid0(VALU_DEP_2) | instskip(SKIP_2) | instid1(VALU_DEP_2)
	v_cmp_lt_u32_e32 vcc_lo, 0xffffff, v97
	v_sub_nc_u32_e32 v82, v134, v135
	v_cndmask_b32_e64 v134, 0, 1, vcc_lo
	v_add_co_ci_u32_e32 v82, vcc_lo, 0, v82, vcc_lo
	s_delay_alu instid0(VALU_DEP_2)
	v_lshrrev_b32_e32 v97, v134, v97
; %bb.672:                              ;   in Loop: Header=BB0_634 Depth=2
	s_and_not1_saveexec_b32 s7, s7
; %bb.673:                              ;   in Loop: Header=BB0_634 Depth=2
	s_delay_alu instid0(VALU_DEP_1)
	v_bfe_u32 v82, v97, 23, 1
; %bb.674:                              ;   in Loop: Header=BB0_634 Depth=2
	s_or_b32 exec_lo, exec_lo, s7
	v_lshrrev_b32_e32 v97, 20, v97
	s_delay_alu instid0(VALU_DEP_2) | instskip(SKIP_2) | instid1(VALU_DEP_2)
	v_cmp_gt_i32_e32 vcc_lo, 16, v82
	v_lshrrev_b32_e32 v96, 24, v96
	v_min_i32_e32 v134, 15, v82
	v_dual_cndmask_b32 v97, 7, v97 :: v_dual_and_b32 v96, 0x80, v96
	s_delay_alu instid0(VALU_DEP_2) | instskip(NEXT) | instid1(VALU_DEP_2)
	v_lshlrev_b32_e32 v134, 3, v134
	v_or_b32_e32 v82, v82, v97
	s_delay_alu instid0(VALU_DEP_1) | instskip(SKIP_1) | instid1(VALU_DEP_1)
	v_cmp_ne_u32_e32 vcc_lo, 0, v82
	v_and_b32_e32 v135, 7, v97
	v_or3_b32 v96, v134, v96, v135
	s_delay_alu instid0(VALU_DEP_1)
	v_cndmask_b32_e32 v82, 0, v96, vcc_lo
.LBB0_675:                              ;   in Loop: Header=BB0_634 Depth=2
	s_or_b32 exec_lo, exec_lo, s18
.LBB0_676:                              ;   in Loop: Header=BB0_634 Depth=2
	s_delay_alu instid0(SALU_CYCLE_1) | instskip(SKIP_3) | instid1(VALU_DEP_1)
	s_or_b32 exec_lo, exec_lo, s8
	v_lshrrev_b32_e32 v96, 16, v81
	s_mov_b32 s7, 0
	s_mov_b32 s18, exec_lo
                                        ; implicit-def: $sgpr8
	v_and_b32_e32 v134, 0xff, v96
	s_delay_alu instid0(VALU_DEP_1)
	v_cmpx_lt_i16_e64 0x7f, v134
	s_xor_b32 s18, exec_lo, s18
	s_cbranch_execnz .LBB0_902
; %bb.677:                              ;   in Loop: Header=BB0_634 Depth=2
	s_or_saveexec_b32 s18, s18
	v_mov_b32_e32 v97, s8
	s_xor_b32 exec_lo, exec_lo, s18
	s_cbranch_execnz .LBB0_905
.LBB0_678:                              ;   in Loop: Header=BB0_634 Depth=2
	s_or_b32 exec_lo, exec_lo, s18
	s_and_saveexec_b32 s8, s7
	s_cbranch_execz .LBB0_680
.LBB0_679:                              ;   in Loop: Header=BB0_634 Depth=2
	v_bfe_u32 v97, v81, 16, 3
	v_lshlrev_b32_e32 v144, 8, v81
	s_delay_alu instid0(VALU_DEP_2) | instskip(NEXT) | instid1(VALU_DEP_1)
	v_clz_i32_u32_e32 v134, v97
	v_min_u32_e32 v134, 32, v134
	s_delay_alu instid0(VALU_DEP_1) | instskip(SKIP_1) | instid1(VALU_DEP_2)
	v_subrev_nc_u32_e32 v135, 28, v134
	v_sub_nc_u32_e32 v134, 29, v134
	v_lshlrev_b32_e32 v96, v135, v96
	v_bfe_u32 v135, v81, 19, 4
	s_delay_alu instid0(VALU_DEP_2) | instskip(NEXT) | instid1(VALU_DEP_2)
	v_and_b32_e32 v96, 7, v96
	v_cmp_eq_u32_e32 vcc_lo, 0, v135
	v_cndmask_b32_e32 v134, v135, v134, vcc_lo
	s_delay_alu instid0(VALU_DEP_3) | instskip(SKIP_1) | instid1(VALU_DEP_3)
	v_cndmask_b32_e32 v96, v97, v96, vcc_lo
	v_and_b32_e32 v97, 0x80000000, v144
	v_lshl_add_u32 v134, v134, 23, 0x3b800000
	s_delay_alu instid0(VALU_DEP_3) | instskip(NEXT) | instid1(VALU_DEP_1)
	v_lshlrev_b32_e32 v96, 20, v96
	v_or3_b32 v97, v97, v134, v96
.LBB0_680:                              ;   in Loop: Header=BB0_634 Depth=2
	s_or_b32 exec_lo, exec_lo, s8
	s_delay_alu instid0(VALU_DEP_1) | instskip(NEXT) | instid1(VALU_DEP_1)
	v_mul_f32_e32 v96, v0, v97
	v_and_b32_e32 v97, 0x7f800000, v96
	s_delay_alu instid0(VALU_DEP_1)
	v_cmp_ne_u32_e32 vcc_lo, 0x7f800000, v97
	v_mov_b32_e32 v97, 0x80
	s_and_saveexec_b32 s8, vcc_lo
	s_cbranch_execz .LBB0_688
; %bb.681:                              ;   in Loop: Header=BB0_634 Depth=2
	v_mov_b32_e32 v97, 0
	s_mov_b32 s18, exec_lo
	v_cmpx_ne_u32_e32 0, v96
	s_cbranch_execz .LBB0_687
; %bb.682:                              ;   in Loop: Header=BB0_634 Depth=2
	v_bfe_u32 v97, v96, 23, 8
	s_delay_alu instid0(VALU_DEP_1) | instskip(SKIP_1) | instid1(VALU_DEP_2)
	v_sub_nc_u32_e32 v135, 0x78, v97
	v_cmp_gt_u32_e32 vcc_lo, 0x79, v97
	v_dual_cndmask_b32 v135, 0, v135 :: v_dual_and_b32 v134, 0x7fffff, v96
	s_delay_alu instid0(VALU_DEP_1) | instskip(SKIP_2) | instid1(VALU_DEP_4)
	v_or_b32_e32 v144, 0x800000, v134
	v_cmp_eq_u32_e32 vcc_lo, 0, v97
	v_add_nc_u32_e32 v97, 0xffffff89, v97
	v_cndmask_b32_e64 v135, v135, 0x77, vcc_lo
	s_delay_alu instid0(VALU_DEP_4) | instskip(NEXT) | instid1(VALU_DEP_3)
	v_cndmask_b32_e32 v134, v144, v134, vcc_lo
	v_cndmask_b32_e64 v97, v97, 0xffffff8a, vcc_lo
	s_delay_alu instid0(VALU_DEP_3) | instskip(NEXT) | instid1(VALU_DEP_3)
	v_lshl_add_u32 v144, 0x100000, v135, -1
	v_lshrrev_b32_e32 v145, v135, v134
	v_lshlrev_b32_e64 v147, v135, 0x80000
	s_delay_alu instid0(VALU_DEP_4) | instskip(NEXT) | instid1(VALU_DEP_4)
	v_add_nc_u32_e32 v135, v135, v97
	v_and_b32_e32 v134, v144, v134
	s_delay_alu instid0(VALU_DEP_4) | instskip(NEXT) | instid1(VALU_DEP_2)
	v_bfe_u32 v146, v145, 20, 1
	v_cmp_eq_u32_e64 s7, v134, v147
	s_delay_alu instid0(VALU_DEP_2) | instskip(NEXT) | instid1(VALU_DEP_1)
	v_add_nc_u32_e32 v144, -1, v146
	v_cndmask_b32_e64 v134, 0, v144, s7
	v_lshrrev_b32_e32 v144, 23, v145
	s_mov_b32 s7, exec_lo
	s_delay_alu instid0(VALU_DEP_2) | instskip(NEXT) | instid1(VALU_DEP_2)
	v_add_nc_u32_e32 v134, v134, v145
	v_xor_b32_e32 v144, 1, v144
	s_delay_alu instid0(VALU_DEP_2) | instskip(NEXT) | instid1(VALU_DEP_1)
	v_and_b32_e32 v97, 0xfffff, v134
	v_add_nc_u32_e32 v134, v97, v145
                                        ; implicit-def: $vgpr97
	s_delay_alu instid0(VALU_DEP_3)
	v_cmpx_ne_u32_e64 v135, v144
	s_xor_b32 s7, exec_lo, s7
; %bb.683:                              ;   in Loop: Header=BB0_634 Depth=2
	s_delay_alu instid0(VALU_DEP_2) | instskip(SKIP_2) | instid1(VALU_DEP_2)
	v_cmp_lt_u32_e32 vcc_lo, 0xffffff, v134
	v_sub_nc_u32_e32 v97, v135, v144
	v_cndmask_b32_e64 v135, 0, 1, vcc_lo
	v_add_co_ci_u32_e32 v97, vcc_lo, 0, v97, vcc_lo
	s_delay_alu instid0(VALU_DEP_2)
	v_lshrrev_b32_e32 v134, v135, v134
; %bb.684:                              ;   in Loop: Header=BB0_634 Depth=2
	s_and_not1_saveexec_b32 s7, s7
; %bb.685:                              ;   in Loop: Header=BB0_634 Depth=2
	s_delay_alu instid0(VALU_DEP_1)
	v_bfe_u32 v97, v134, 23, 1
; %bb.686:                              ;   in Loop: Header=BB0_634 Depth=2
	s_or_b32 exec_lo, exec_lo, s7
	v_lshrrev_b32_e32 v134, 20, v134
	s_delay_alu instid0(VALU_DEP_2) | instskip(SKIP_2) | instid1(VALU_DEP_2)
	v_cmp_gt_i32_e32 vcc_lo, 16, v97
	v_min_i32_e32 v135, 15, v97
	v_lshrrev_b32_e32 v96, 24, v96
	v_dual_cndmask_b32 v134, 7, v134 :: v_dual_lshlrev_b32 v135, 3, v135
	s_delay_alu instid0(VALU_DEP_2) | instskip(NEXT) | instid1(VALU_DEP_2)
	v_and_b32_e32 v96, 0x80, v96
	v_or_b32_e32 v97, v97, v134
	s_delay_alu instid0(VALU_DEP_1) | instskip(SKIP_1) | instid1(VALU_DEP_1)
	v_cmp_ne_u32_e32 vcc_lo, 0, v97
	v_and_b32_e32 v144, 7, v134
	v_or3_b32 v96, v135, v96, v144
	s_delay_alu instid0(VALU_DEP_1)
	v_cndmask_b32_e32 v97, 0, v96, vcc_lo
.LBB0_687:                              ;   in Loop: Header=BB0_634 Depth=2
	s_or_b32 exec_lo, exec_lo, s18
.LBB0_688:                              ;   in Loop: Header=BB0_634 Depth=2
	s_delay_alu instid0(SALU_CYCLE_1) | instskip(SKIP_3) | instid1(VALU_DEP_1)
	s_or_b32 exec_lo, exec_lo, s8
	v_lshrrev_b32_e32 v96, 24, v81
	s_mov_b32 s7, 0
	s_mov_b32 s18, exec_lo
                                        ; implicit-def: $sgpr8
	v_cmpx_lt_i16_e32 0x7f, v96
	s_xor_b32 s18, exec_lo, s18
	s_cbranch_execnz .LBB0_906
; %bb.689:                              ;   in Loop: Header=BB0_634 Depth=2
	s_or_saveexec_b32 s18, s18
	v_mov_b32_e32 v134, s8
	s_xor_b32 exec_lo, exec_lo, s18
	s_cbranch_execnz .LBB0_909
.LBB0_690:                              ;   in Loop: Header=BB0_634 Depth=2
	s_or_b32 exec_lo, exec_lo, s18
	s_and_saveexec_b32 s8, s7
	s_cbranch_execz .LBB0_692
.LBB0_691:                              ;   in Loop: Header=BB0_634 Depth=2
	v_bfe_u32 v134, v81, 24, 3
	s_delay_alu instid0(VALU_DEP_1) | instskip(NEXT) | instid1(VALU_DEP_1)
	v_clz_i32_u32_e32 v135, v134
	v_min_u32_e32 v135, 32, v135
	s_delay_alu instid0(VALU_DEP_1) | instskip(SKIP_1) | instid1(VALU_DEP_2)
	v_subrev_nc_u32_e32 v144, 28, v135
	v_sub_nc_u32_e32 v135, 29, v135
	v_lshlrev_b32_e32 v96, v144, v96
	v_bfe_u32 v144, v81, 27, 4
	v_and_b32_e32 v81, 0x80000000, v81
	s_delay_alu instid0(VALU_DEP_2) | instskip(NEXT) | instid1(VALU_DEP_4)
	v_cmp_eq_u32_e32 vcc_lo, 0, v144
	v_dual_cndmask_b32 v135, v144, v135 :: v_dual_and_b32 v96, 7, v96
	s_delay_alu instid0(VALU_DEP_1) | instskip(NEXT) | instid1(VALU_DEP_2)
	v_cndmask_b32_e32 v96, v134, v96, vcc_lo
	v_lshl_add_u32 v134, v135, 23, 0x3b800000
	s_delay_alu instid0(VALU_DEP_2) | instskip(NEXT) | instid1(VALU_DEP_1)
	v_lshlrev_b32_e32 v96, 20, v96
	v_or3_b32 v134, v81, v134, v96
.LBB0_692:                              ;   in Loop: Header=BB0_634 Depth=2
	s_or_b32 exec_lo, exec_lo, s8
	s_delay_alu instid0(VALU_DEP_1) | instskip(NEXT) | instid1(VALU_DEP_1)
	v_mul_f32_e32 v81, v0, v134
	v_and_b32_e32 v96, 0x7f800000, v81
	s_delay_alu instid0(VALU_DEP_1)
	v_cmp_ne_u32_e32 vcc_lo, 0x7f800000, v96
	v_mov_b32_e32 v96, 0x80
	s_and_saveexec_b32 s8, vcc_lo
	s_cbranch_execz .LBB0_700
; %bb.693:                              ;   in Loop: Header=BB0_634 Depth=2
	v_mov_b32_e32 v96, 0
	s_mov_b32 s18, exec_lo
	v_cmpx_ne_u32_e32 0, v81
	s_cbranch_execz .LBB0_699
; %bb.694:                              ;   in Loop: Header=BB0_634 Depth=2
	v_bfe_u32 v96, v81, 23, 8
	s_delay_alu instid0(VALU_DEP_1) | instskip(SKIP_1) | instid1(VALU_DEP_2)
	v_sub_nc_u32_e32 v135, 0x78, v96
	v_cmp_gt_u32_e32 vcc_lo, 0x79, v96
	v_dual_cndmask_b32 v135, 0, v135 :: v_dual_and_b32 v134, 0x7fffff, v81
	s_delay_alu instid0(VALU_DEP_1) | instskip(SKIP_2) | instid1(VALU_DEP_4)
	v_or_b32_e32 v144, 0x800000, v134
	v_cmp_eq_u32_e32 vcc_lo, 0, v96
	v_add_nc_u32_e32 v96, 0xffffff89, v96
	v_cndmask_b32_e64 v135, v135, 0x77, vcc_lo
	s_delay_alu instid0(VALU_DEP_2) | instskip(SKIP_1) | instid1(VALU_DEP_3)
	v_cndmask_b32_e64 v96, v96, 0xffffff8a, vcc_lo
	v_cndmask_b32_e32 v134, v144, v134, vcc_lo
	v_lshl_add_u32 v144, 0x100000, v135, -1
	v_lshlrev_b32_e64 v147, v135, 0x80000
	s_delay_alu instid0(VALU_DEP_3) | instskip(SKIP_1) | instid1(VALU_DEP_4)
	v_lshrrev_b32_e32 v145, v135, v134
	v_add_nc_u32_e32 v135, v135, v96
	v_and_b32_e32 v134, v144, v134
	s_delay_alu instid0(VALU_DEP_3) | instskip(NEXT) | instid1(VALU_DEP_2)
	v_bfe_u32 v146, v145, 20, 1
	v_cmp_eq_u32_e64 s7, v134, v147
	s_delay_alu instid0(VALU_DEP_2) | instskip(NEXT) | instid1(VALU_DEP_1)
	v_add_nc_u32_e32 v144, -1, v146
	v_cndmask_b32_e64 v134, 0, v144, s7
	v_lshrrev_b32_e32 v144, 23, v145
	s_mov_b32 s7, exec_lo
	s_delay_alu instid0(VALU_DEP_2) | instskip(NEXT) | instid1(VALU_DEP_2)
	v_add_nc_u32_e32 v134, v134, v145
	v_xor_b32_e32 v144, 1, v144
	s_delay_alu instid0(VALU_DEP_2) | instskip(NEXT) | instid1(VALU_DEP_1)
	v_and_b32_e32 v96, 0xfffff, v134
	v_add_nc_u32_e32 v134, v96, v145
                                        ; implicit-def: $vgpr96
	s_delay_alu instid0(VALU_DEP_3)
	v_cmpx_ne_u32_e64 v135, v144
	s_xor_b32 s7, exec_lo, s7
; %bb.695:                              ;   in Loop: Header=BB0_634 Depth=2
	s_delay_alu instid0(VALU_DEP_2) | instskip(SKIP_2) | instid1(VALU_DEP_2)
	v_cmp_lt_u32_e32 vcc_lo, 0xffffff, v134
	v_sub_nc_u32_e32 v96, v135, v144
	v_cndmask_b32_e64 v135, 0, 1, vcc_lo
	v_add_co_ci_u32_e32 v96, vcc_lo, 0, v96, vcc_lo
	s_delay_alu instid0(VALU_DEP_2)
	v_lshrrev_b32_e32 v134, v135, v134
; %bb.696:                              ;   in Loop: Header=BB0_634 Depth=2
	s_and_not1_saveexec_b32 s7, s7
; %bb.697:                              ;   in Loop: Header=BB0_634 Depth=2
	s_delay_alu instid0(VALU_DEP_1)
	v_bfe_u32 v96, v134, 23, 1
; %bb.698:                              ;   in Loop: Header=BB0_634 Depth=2
	s_or_b32 exec_lo, exec_lo, s7
	v_lshrrev_b32_e32 v134, 20, v134
	s_delay_alu instid0(VALU_DEP_2) | instskip(SKIP_2) | instid1(VALU_DEP_2)
	v_cmp_gt_i32_e32 vcc_lo, 16, v96
	v_lshrrev_b32_e32 v81, 24, v81
	v_min_i32_e32 v135, 15, v96
	v_dual_cndmask_b32 v134, 7, v134 :: v_dual_and_b32 v81, 0x80, v81
	s_delay_alu instid0(VALU_DEP_1) | instskip(SKIP_1) | instid1(VALU_DEP_2)
	v_or_b32_e32 v96, v96, v134
	v_and_b32_e32 v144, 7, v134
	v_cmp_ne_u32_e32 vcc_lo, 0, v96
	v_lshlrev_b32_e32 v135, 3, v135
	s_delay_alu instid0(VALU_DEP_1) | instskip(NEXT) | instid1(VALU_DEP_1)
	v_or3_b32 v81, v135, v81, v144
	v_cndmask_b32_e32 v96, 0, v81, vcc_lo
.LBB0_699:                              ;   in Loop: Header=BB0_634 Depth=2
	s_or_b32 exec_lo, exec_lo, s18
.LBB0_700:                              ;   in Loop: Header=BB0_634 Depth=2
	s_delay_alu instid0(SALU_CYCLE_1) | instskip(SKIP_3) | instid1(VALU_DEP_1)
	s_or_b32 exec_lo, exec_lo, s8
	v_alignbit_b32 v87, v87, v133, v18
	s_mov_b32 s7, 0
	s_mov_b32 s18, exec_lo
                                        ; implicit-def: $sgpr8
	v_and_b32_e32 v81, 0xff, v87
	s_delay_alu instid0(VALU_DEP_1)
	v_cmpx_lt_i16_e32 0x7f, v81
	s_xor_b32 s18, exec_lo, s18
	s_cbranch_execnz .LBB0_910
; %bb.701:                              ;   in Loop: Header=BB0_634 Depth=2
	s_or_saveexec_b32 s18, s18
	v_mov_b32_e32 v18, s8
	s_xor_b32 exec_lo, exec_lo, s18
	s_cbranch_execnz .LBB0_913
.LBB0_702:                              ;   in Loop: Header=BB0_634 Depth=2
	s_or_b32 exec_lo, exec_lo, s18
	s_and_saveexec_b32 s8, s7
	s_cbranch_execz .LBB0_704
.LBB0_703:                              ;   in Loop: Header=BB0_634 Depth=2
	v_bfe_u32 v134, v87, 3, 4
	s_delay_alu instid0(VALU_DEP_1) | instskip(SKIP_1) | instid1(VALU_DEP_1)
	v_cmp_eq_u32_e32 vcc_lo, 0, v134
	v_and_b32_e32 v18, 7, v87
	v_clz_i32_u32_e32 v81, v18
	s_delay_alu instid0(VALU_DEP_1) | instskip(NEXT) | instid1(VALU_DEP_1)
	v_min_u32_e32 v81, 32, v81
	v_subrev_nc_u32_e32 v133, 28, v81
	v_sub_nc_u32_e32 v81, 29, v81
	s_delay_alu instid0(VALU_DEP_2) | instskip(NEXT) | instid1(VALU_DEP_2)
	v_lshlrev_b32_e32 v133, v133, v87
	v_cndmask_b32_e32 v81, v134, v81, vcc_lo
	s_delay_alu instid0(VALU_DEP_2) | instskip(SKIP_1) | instid1(VALU_DEP_3)
	v_and_b32_e32 v133, 7, v133
	v_lshlrev_b32_e32 v135, 24, v87
	v_lshl_add_u32 v81, v81, 23, 0x3b800000
	s_delay_alu instid0(VALU_DEP_2) | instskip(NEXT) | instid1(VALU_DEP_1)
	v_dual_cndmask_b32 v18, v18, v133 :: v_dual_and_b32 v133, 0x80000000, v135
	v_lshlrev_b32_e32 v18, 20, v18
	s_delay_alu instid0(VALU_DEP_1)
	v_or3_b32 v18, v133, v81, v18
.LBB0_704:                              ;   in Loop: Header=BB0_634 Depth=2
	s_or_b32 exec_lo, exec_lo, s8
	s_delay_alu instid0(VALU_DEP_1) | instskip(NEXT) | instid1(VALU_DEP_1)
	v_mul_f32_e32 v18, v0, v18
	v_and_b32_e32 v81, 0x7f800000, v18
	s_delay_alu instid0(VALU_DEP_1)
	v_cmp_ne_u32_e32 vcc_lo, 0x7f800000, v81
	v_mov_b32_e32 v81, 0x80
	s_and_saveexec_b32 s8, vcc_lo
	s_cbranch_execz .LBB0_712
; %bb.705:                              ;   in Loop: Header=BB0_634 Depth=2
	v_mov_b32_e32 v81, 0
	s_mov_b32 s18, exec_lo
	v_cmpx_ne_u32_e32 0, v18
	s_cbranch_execz .LBB0_711
; %bb.706:                              ;   in Loop: Header=BB0_634 Depth=2
	v_bfe_u32 v81, v18, 23, 8
	v_and_b32_e32 v133, 0x7fffff, v18
	s_delay_alu instid0(VALU_DEP_2) | instskip(SKIP_1) | instid1(VALU_DEP_3)
	v_sub_nc_u32_e32 v134, 0x78, v81
	v_cmp_gt_u32_e32 vcc_lo, 0x79, v81
	v_or_b32_e32 v135, 0x800000, v133
	s_delay_alu instid0(VALU_DEP_3) | instskip(SKIP_2) | instid1(VALU_DEP_4)
	v_cndmask_b32_e32 v134, 0, v134, vcc_lo
	v_cmp_eq_u32_e32 vcc_lo, 0, v81
	v_add_nc_u32_e32 v81, 0xffffff89, v81
	v_cndmask_b32_e32 v133, v135, v133, vcc_lo
	s_delay_alu instid0(VALU_DEP_4) | instskip(NEXT) | instid1(VALU_DEP_3)
	v_cndmask_b32_e64 v134, v134, 0x77, vcc_lo
	v_cndmask_b32_e64 v81, v81, 0xffffff8a, vcc_lo
	s_delay_alu instid0(VALU_DEP_2) | instskip(SKIP_2) | instid1(VALU_DEP_4)
	v_lshrrev_b32_e32 v144, v134, v133
	v_lshl_add_u32 v135, 0x100000, v134, -1
	v_lshlrev_b32_e64 v146, v134, 0x80000
	v_add_nc_u32_e32 v134, v134, v81
	s_delay_alu instid0(VALU_DEP_4) | instskip(NEXT) | instid1(VALU_DEP_4)
	v_bfe_u32 v145, v144, 20, 1
	v_and_b32_e32 v133, v135, v133
	s_delay_alu instid0(VALU_DEP_2) | instskip(NEXT) | instid1(VALU_DEP_2)
	v_add_nc_u32_e32 v135, -1, v145
	v_cmp_eq_u32_e64 s7, v133, v146
	s_delay_alu instid0(VALU_DEP_1) | instskip(SKIP_2) | instid1(VALU_DEP_2)
	v_cndmask_b32_e64 v133, 0, v135, s7
	v_lshrrev_b32_e32 v135, 23, v144
	s_mov_b32 s7, exec_lo
	v_add_nc_u32_e32 v133, v133, v144
	s_delay_alu instid0(VALU_DEP_2) | instskip(NEXT) | instid1(VALU_DEP_2)
	v_xor_b32_e32 v135, 1, v135
	v_and_b32_e32 v81, 0xfffff, v133
	s_delay_alu instid0(VALU_DEP_1) | instskip(NEXT) | instid1(VALU_DEP_3)
	v_add_nc_u32_e32 v133, v81, v144
                                        ; implicit-def: $vgpr81
	v_cmpx_ne_u32_e64 v134, v135
	s_xor_b32 s7, exec_lo, s7
; %bb.707:                              ;   in Loop: Header=BB0_634 Depth=2
	s_delay_alu instid0(VALU_DEP_2) | instskip(SKIP_2) | instid1(VALU_DEP_2)
	v_cmp_lt_u32_e32 vcc_lo, 0xffffff, v133
	v_sub_nc_u32_e32 v81, v134, v135
	v_cndmask_b32_e64 v134, 0, 1, vcc_lo
	v_add_co_ci_u32_e32 v81, vcc_lo, 0, v81, vcc_lo
	s_delay_alu instid0(VALU_DEP_2)
	v_lshrrev_b32_e32 v133, v134, v133
; %bb.708:                              ;   in Loop: Header=BB0_634 Depth=2
	s_and_not1_saveexec_b32 s7, s7
; %bb.709:                              ;   in Loop: Header=BB0_634 Depth=2
	s_delay_alu instid0(VALU_DEP_1)
	v_bfe_u32 v81, v133, 23, 1
; %bb.710:                              ;   in Loop: Header=BB0_634 Depth=2
	s_or_b32 exec_lo, exec_lo, s7
	v_lshrrev_b32_e32 v133, 20, v133
	s_delay_alu instid0(VALU_DEP_2) | instskip(SKIP_2) | instid1(VALU_DEP_3)
	v_min_i32_e32 v134, 15, v81
	v_cmp_gt_i32_e32 vcc_lo, 16, v81
	v_lshrrev_b32_e32 v18, 24, v18
	v_dual_cndmask_b32 v133, 7, v133 :: v_dual_lshlrev_b32 v134, 3, v134
	s_delay_alu instid0(VALU_DEP_2) | instskip(NEXT) | instid1(VALU_DEP_2)
	v_and_b32_e32 v18, 0x80, v18
	v_and_b32_e32 v134, 0xf8, v134
	s_delay_alu instid0(VALU_DEP_3) | instskip(SKIP_1) | instid1(VALU_DEP_2)
	v_and_b32_e32 v135, 7, v133
	v_or_b32_e32 v81, v81, v133
	v_or3_b32 v18, v134, v18, v135
	s_delay_alu instid0(VALU_DEP_2) | instskip(NEXT) | instid1(VALU_DEP_2)
	v_cmp_ne_u32_e32 vcc_lo, 0, v81
	v_cndmask_b32_e32 v81, 0, v18, vcc_lo
.LBB0_711:                              ;   in Loop: Header=BB0_634 Depth=2
	s_or_b32 exec_lo, exec_lo, s18
.LBB0_712:                              ;   in Loop: Header=BB0_634 Depth=2
	s_delay_alu instid0(SALU_CYCLE_1) | instskip(SKIP_3) | instid1(VALU_DEP_1)
	s_or_b32 exec_lo, exec_lo, s8
	v_lshrrev_b16 v18, 8, v87
	s_mov_b32 s7, 0
	s_mov_b32 s18, exec_lo
                                        ; implicit-def: $sgpr8
	v_cmpx_lt_i16_e32 0x7f, v18
	s_xor_b32 s18, exec_lo, s18
	s_cbranch_execnz .LBB0_914
; %bb.713:                              ;   in Loop: Header=BB0_634 Depth=2
	s_or_saveexec_b32 s18, s18
	v_mov_b32_e32 v133, s8
	s_xor_b32 exec_lo, exec_lo, s18
	s_cbranch_execnz .LBB0_917
.LBB0_714:                              ;   in Loop: Header=BB0_634 Depth=2
	s_or_b32 exec_lo, exec_lo, s18
	s_and_saveexec_b32 s8, s7
	s_cbranch_execz .LBB0_716
.LBB0_715:                              ;   in Loop: Header=BB0_634 Depth=2
	v_and_b32_e32 v133, 0xffff, v18
	v_lshlrev_b32_e32 v18, 24, v18
	s_delay_alu instid0(VALU_DEP_2) | instskip(NEXT) | instid1(VALU_DEP_2)
	v_and_b32_e32 v134, 7, v133
	v_and_b32_e32 v18, 0x80000000, v18
	s_delay_alu instid0(VALU_DEP_2) | instskip(NEXT) | instid1(VALU_DEP_1)
	v_clz_i32_u32_e32 v135, v134
	v_min_u32_e32 v135, 32, v135
	s_delay_alu instid0(VALU_DEP_1) | instskip(SKIP_1) | instid1(VALU_DEP_2)
	v_subrev_nc_u32_e32 v144, 28, v135
	v_sub_nc_u32_e32 v135, 29, v135
	v_lshlrev_b32_e32 v144, v144, v133
	v_bfe_u32 v133, v133, 3, 4
	s_delay_alu instid0(VALU_DEP_2) | instskip(NEXT) | instid1(VALU_DEP_2)
	v_and_b32_e32 v144, 7, v144
	v_cmp_eq_u32_e32 vcc_lo, 0, v133
	s_delay_alu instid0(VALU_DEP_2) | instskip(NEXT) | instid1(VALU_DEP_1)
	v_dual_cndmask_b32 v133, v133, v135 :: v_dual_cndmask_b32 v134, v134, v144
	v_lshl_add_u32 v133, v133, 23, 0x3b800000
	s_delay_alu instid0(VALU_DEP_2) | instskip(NEXT) | instid1(VALU_DEP_1)
	v_lshlrev_b32_e32 v134, 20, v134
	v_or3_b32 v133, v18, v133, v134
.LBB0_716:                              ;   in Loop: Header=BB0_634 Depth=2
	s_or_b32 exec_lo, exec_lo, s8
	s_delay_alu instid0(VALU_DEP_1) | instskip(NEXT) | instid1(VALU_DEP_1)
	v_mul_f32_e32 v18, v0, v133
	v_and_b32_e32 v133, 0x7f800000, v18
	s_delay_alu instid0(VALU_DEP_1)
	v_cmp_ne_u32_e32 vcc_lo, 0x7f800000, v133
	v_mov_b32_e32 v133, 0x8000
	s_and_saveexec_b32 s8, vcc_lo
	s_cbranch_execz .LBB0_724
; %bb.717:                              ;   in Loop: Header=BB0_634 Depth=2
	v_mov_b32_e32 v133, 0
	s_mov_b32 s18, exec_lo
	v_cmpx_ne_u32_e32 0, v18
	s_cbranch_execz .LBB0_723
; %bb.718:                              ;   in Loop: Header=BB0_634 Depth=2
	v_bfe_u32 v133, v18, 23, 8
	s_delay_alu instid0(VALU_DEP_1) | instskip(SKIP_1) | instid1(VALU_DEP_2)
	v_sub_nc_u32_e32 v135, 0x78, v133
	v_cmp_gt_u32_e32 vcc_lo, 0x79, v133
	v_dual_cndmask_b32 v135, 0, v135 :: v_dual_and_b32 v134, 0x7fffff, v18
	s_delay_alu instid0(VALU_DEP_1) | instskip(SKIP_2) | instid1(VALU_DEP_4)
	v_or_b32_e32 v144, 0x800000, v134
	v_cmp_eq_u32_e32 vcc_lo, 0, v133
	v_add_nc_u32_e32 v133, 0xffffff89, v133
	v_cndmask_b32_e64 v135, v135, 0x77, vcc_lo
	s_delay_alu instid0(VALU_DEP_4) | instskip(NEXT) | instid1(VALU_DEP_3)
	v_cndmask_b32_e32 v134, v144, v134, vcc_lo
	v_cndmask_b32_e64 v133, v133, 0xffffff8a, vcc_lo
	s_delay_alu instid0(VALU_DEP_3) | instskip(NEXT) | instid1(VALU_DEP_3)
	v_lshl_add_u32 v144, 0x100000, v135, -1
	v_lshrrev_b32_e32 v145, v135, v134
	v_lshlrev_b32_e64 v147, v135, 0x80000
	s_delay_alu instid0(VALU_DEP_4) | instskip(NEXT) | instid1(VALU_DEP_4)
	v_add_nc_u32_e32 v135, v135, v133
	v_and_b32_e32 v134, v144, v134
	s_delay_alu instid0(VALU_DEP_4) | instskip(NEXT) | instid1(VALU_DEP_2)
	v_bfe_u32 v146, v145, 20, 1
	v_cmp_eq_u32_e64 s7, v134, v147
	s_delay_alu instid0(VALU_DEP_2) | instskip(NEXT) | instid1(VALU_DEP_1)
	v_add_nc_u32_e32 v144, -1, v146
	v_cndmask_b32_e64 v134, 0, v144, s7
	v_lshrrev_b32_e32 v144, 23, v145
	s_mov_b32 s7, exec_lo
	s_delay_alu instid0(VALU_DEP_2) | instskip(NEXT) | instid1(VALU_DEP_2)
	v_add_nc_u32_e32 v134, v134, v145
	v_xor_b32_e32 v144, 1, v144
	s_delay_alu instid0(VALU_DEP_2) | instskip(NEXT) | instid1(VALU_DEP_1)
	v_and_b32_e32 v133, 0xfffff, v134
	v_add_nc_u32_e32 v134, v133, v145
                                        ; implicit-def: $vgpr133
	s_delay_alu instid0(VALU_DEP_3)
	v_cmpx_ne_u32_e64 v135, v144
	s_xor_b32 s7, exec_lo, s7
; %bb.719:                              ;   in Loop: Header=BB0_634 Depth=2
	s_delay_alu instid0(VALU_DEP_2) | instskip(SKIP_2) | instid1(VALU_DEP_2)
	v_cmp_lt_u32_e32 vcc_lo, 0xffffff, v134
	v_sub_nc_u32_e32 v133, v135, v144
	v_cndmask_b32_e64 v135, 0, 1, vcc_lo
	v_add_co_ci_u32_e32 v133, vcc_lo, 0, v133, vcc_lo
	s_delay_alu instid0(VALU_DEP_2)
	v_lshrrev_b32_e32 v134, v135, v134
; %bb.720:                              ;   in Loop: Header=BB0_634 Depth=2
	s_and_not1_saveexec_b32 s7, s7
; %bb.721:                              ;   in Loop: Header=BB0_634 Depth=2
	s_delay_alu instid0(VALU_DEP_1)
	v_bfe_u32 v133, v134, 23, 1
; %bb.722:                              ;   in Loop: Header=BB0_634 Depth=2
	s_or_b32 exec_lo, exec_lo, s7
	v_lshrrev_b32_e32 v134, 20, v134
	s_delay_alu instid0(VALU_DEP_2) | instskip(SKIP_2) | instid1(VALU_DEP_3)
	v_min_i32_e32 v135, 15, v133
	v_cmp_gt_i32_e32 vcc_lo, 16, v133
	v_lshrrev_b32_e32 v18, 24, v18
	v_dual_cndmask_b32 v134, 7, v134 :: v_dual_lshlrev_b32 v135, 3, v135
	s_delay_alu instid0(VALU_DEP_2) | instskip(NEXT) | instid1(VALU_DEP_2)
	v_and_b32_e32 v18, 0x80, v18
	v_and_b32_e32 v135, 0xf8, v135
	s_delay_alu instid0(VALU_DEP_3) | instskip(SKIP_1) | instid1(VALU_DEP_2)
	v_and_b32_e32 v144, 7, v134
	v_or_b32_e32 v133, v133, v134
	v_or3_b32 v18, v18, v135, v144
	s_delay_alu instid0(VALU_DEP_2) | instskip(NEXT) | instid1(VALU_DEP_2)
	v_cmp_ne_u32_e32 vcc_lo, 0, v133
	v_lshlrev_b32_e32 v18, 8, v18
	s_delay_alu instid0(VALU_DEP_1)
	v_cndmask_b32_e32 v133, 0, v18, vcc_lo
.LBB0_723:                              ;   in Loop: Header=BB0_634 Depth=2
	s_or_b32 exec_lo, exec_lo, s18
.LBB0_724:                              ;   in Loop: Header=BB0_634 Depth=2
	s_delay_alu instid0(SALU_CYCLE_1) | instskip(SKIP_3) | instid1(VALU_DEP_1)
	s_or_b32 exec_lo, exec_lo, s8
	v_lshrrev_b32_e32 v18, 16, v87
	s_mov_b32 s7, 0
	s_mov_b32 s18, exec_lo
                                        ; implicit-def: $sgpr8
	v_and_b32_e32 v135, 0xff, v18
	s_delay_alu instid0(VALU_DEP_1)
	v_cmpx_lt_i16_e64 0x7f, v135
	s_xor_b32 s18, exec_lo, s18
	s_cbranch_execnz .LBB0_918
; %bb.725:                              ;   in Loop: Header=BB0_634 Depth=2
	s_or_saveexec_b32 s18, s18
	v_mov_b32_e32 v134, s8
	s_xor_b32 exec_lo, exec_lo, s18
	s_cbranch_execnz .LBB0_921
.LBB0_726:                              ;   in Loop: Header=BB0_634 Depth=2
	s_or_b32 exec_lo, exec_lo, s18
	s_and_saveexec_b32 s8, s7
	s_cbranch_execz .LBB0_728
.LBB0_727:                              ;   in Loop: Header=BB0_634 Depth=2
	v_bfe_u32 v134, v87, 16, 3
	s_delay_alu instid0(VALU_DEP_1) | instskip(NEXT) | instid1(VALU_DEP_1)
	v_clz_i32_u32_e32 v135, v134
	v_min_u32_e32 v135, 32, v135
	s_delay_alu instid0(VALU_DEP_1) | instskip(SKIP_1) | instid1(VALU_DEP_2)
	v_subrev_nc_u32_e32 v144, 28, v135
	v_sub_nc_u32_e32 v135, 29, v135
	v_lshlrev_b32_e32 v18, v144, v18
	v_bfe_u32 v144, v87, 19, 4
	s_delay_alu instid0(VALU_DEP_1) | instskip(NEXT) | instid1(VALU_DEP_3)
	v_cmp_eq_u32_e32 vcc_lo, 0, v144
	v_dual_cndmask_b32 v135, v144, v135 :: v_dual_and_b32 v18, 7, v18
	s_delay_alu instid0(VALU_DEP_1) | instskip(NEXT) | instid1(VALU_DEP_2)
	v_dual_cndmask_b32 v18, v134, v18 :: v_dual_lshlrev_b32 v145, 8, v87
	v_lshl_add_u32 v135, v135, 23, 0x3b800000
	s_delay_alu instid0(VALU_DEP_2) | instskip(NEXT) | instid1(VALU_DEP_3)
	v_and_b32_e32 v134, 0x80000000, v145
	v_lshlrev_b32_e32 v18, 20, v18
	s_delay_alu instid0(VALU_DEP_1)
	v_or3_b32 v134, v134, v135, v18
.LBB0_728:                              ;   in Loop: Header=BB0_634 Depth=2
	s_or_b32 exec_lo, exec_lo, s8
	s_delay_alu instid0(VALU_DEP_1) | instskip(NEXT) | instid1(VALU_DEP_1)
	v_mul_f32_e32 v134, v0, v134
	v_and_b32_e32 v18, 0x7f800000, v134
	s_delay_alu instid0(VALU_DEP_1)
	v_cmp_ne_u32_e32 vcc_lo, 0x7f800000, v18
	v_mov_b32_e32 v18, 0x80
	s_and_saveexec_b32 s8, vcc_lo
	s_cbranch_execz .LBB0_736
; %bb.729:                              ;   in Loop: Header=BB0_634 Depth=2
	v_mov_b32_e32 v18, 0
	s_mov_b32 s18, exec_lo
	v_cmpx_ne_u32_e32 0, v134
	s_cbranch_execz .LBB0_735
; %bb.730:                              ;   in Loop: Header=BB0_634 Depth=2
	v_bfe_u32 v18, v134, 23, 8
	s_delay_alu instid0(VALU_DEP_1) | instskip(SKIP_1) | instid1(VALU_DEP_2)
	v_sub_nc_u32_e32 v144, 0x78, v18
	v_cmp_gt_u32_e32 vcc_lo, 0x79, v18
	v_dual_cndmask_b32 v144, 0, v144 :: v_dual_and_b32 v135, 0x7fffff, v134
	s_delay_alu instid0(VALU_DEP_1) | instskip(SKIP_2) | instid1(VALU_DEP_4)
	v_or_b32_e32 v145, 0x800000, v135
	v_cmp_eq_u32_e32 vcc_lo, 0, v18
	v_add_nc_u32_e32 v18, 0xffffff89, v18
	v_cndmask_b32_e64 v144, v144, 0x77, vcc_lo
	s_delay_alu instid0(VALU_DEP_4) | instskip(NEXT) | instid1(VALU_DEP_3)
	v_cndmask_b32_e32 v135, v145, v135, vcc_lo
	v_cndmask_b32_e64 v18, v18, 0xffffff8a, vcc_lo
	s_delay_alu instid0(VALU_DEP_3) | instskip(NEXT) | instid1(VALU_DEP_3)
	v_lshl_add_u32 v145, 0x100000, v144, -1
	v_lshrrev_b32_e32 v146, v144, v135
	v_lshlrev_b32_e64 v148, v144, 0x80000
	s_delay_alu instid0(VALU_DEP_4) | instskip(NEXT) | instid1(VALU_DEP_4)
	v_add_nc_u32_e32 v144, v144, v18
	v_and_b32_e32 v135, v145, v135
	s_delay_alu instid0(VALU_DEP_4) | instskip(NEXT) | instid1(VALU_DEP_2)
	v_bfe_u32 v147, v146, 20, 1
	v_cmp_eq_u32_e64 s7, v135, v148
	s_delay_alu instid0(VALU_DEP_2) | instskip(NEXT) | instid1(VALU_DEP_1)
	v_add_nc_u32_e32 v145, -1, v147
	v_cndmask_b32_e64 v135, 0, v145, s7
	v_lshrrev_b32_e32 v145, 23, v146
	s_mov_b32 s7, exec_lo
	s_delay_alu instid0(VALU_DEP_2) | instskip(NEXT) | instid1(VALU_DEP_2)
	v_add_nc_u32_e32 v135, v135, v146
	v_xor_b32_e32 v145, 1, v145
	s_delay_alu instid0(VALU_DEP_2) | instskip(NEXT) | instid1(VALU_DEP_1)
	v_and_b32_e32 v18, 0xfffff, v135
	v_add_nc_u32_e32 v135, v18, v146
                                        ; implicit-def: $vgpr18
	s_delay_alu instid0(VALU_DEP_3)
	v_cmpx_ne_u32_e64 v144, v145
	s_xor_b32 s7, exec_lo, s7
; %bb.731:                              ;   in Loop: Header=BB0_634 Depth=2
	s_delay_alu instid0(VALU_DEP_2) | instskip(SKIP_2) | instid1(VALU_DEP_2)
	v_cmp_lt_u32_e32 vcc_lo, 0xffffff, v135
	v_sub_nc_u32_e32 v18, v144, v145
	v_cndmask_b32_e64 v144, 0, 1, vcc_lo
	v_add_co_ci_u32_e32 v18, vcc_lo, 0, v18, vcc_lo
	s_delay_alu instid0(VALU_DEP_2)
	v_lshrrev_b32_e32 v135, v144, v135
; %bb.732:                              ;   in Loop: Header=BB0_634 Depth=2
	s_and_not1_saveexec_b32 s7, s7
; %bb.733:                              ;   in Loop: Header=BB0_634 Depth=2
	s_delay_alu instid0(VALU_DEP_1)
	v_bfe_u32 v18, v135, 23, 1
; %bb.734:                              ;   in Loop: Header=BB0_634 Depth=2
	s_or_b32 exec_lo, exec_lo, s7
	v_lshrrev_b32_e32 v135, 20, v135
	s_delay_alu instid0(VALU_DEP_2) | instskip(SKIP_2) | instid1(VALU_DEP_2)
	v_cmp_gt_i32_e32 vcc_lo, 16, v18
	v_min_i32_e32 v144, 15, v18
	v_lshrrev_b32_e32 v134, 24, v134
	v_dual_cndmask_b32 v135, 7, v135 :: v_dual_lshlrev_b32 v144, 3, v144
	s_delay_alu instid0(VALU_DEP_2) | instskip(NEXT) | instid1(VALU_DEP_2)
	v_and_b32_e32 v134, 0x80, v134
	v_or_b32_e32 v18, v18, v135
	s_delay_alu instid0(VALU_DEP_3) | instskip(NEXT) | instid1(VALU_DEP_2)
	v_and_b32_e32 v144, 0xf8, v144
	v_cmp_ne_u32_e32 vcc_lo, 0, v18
	v_and_b32_e32 v145, 7, v135
	s_delay_alu instid0(VALU_DEP_1) | instskip(NEXT) | instid1(VALU_DEP_1)
	v_or3_b32 v134, v144, v134, v145
	v_cndmask_b32_e32 v18, 0, v134, vcc_lo
.LBB0_735:                              ;   in Loop: Header=BB0_634 Depth=2
	s_or_b32 exec_lo, exec_lo, s18
.LBB0_736:                              ;   in Loop: Header=BB0_634 Depth=2
	s_delay_alu instid0(SALU_CYCLE_1) | instskip(SKIP_3) | instid1(VALU_DEP_1)
	s_or_b32 exec_lo, exec_lo, s8
	v_lshrrev_b32_e32 v134, 24, v87
	s_mov_b32 s7, 0
	s_mov_b32 s18, exec_lo
                                        ; implicit-def: $sgpr8
	v_cmpx_lt_i16_e64 0x7f, v134
	s_xor_b32 s18, exec_lo, s18
	s_cbranch_execnz .LBB0_922
; %bb.737:                              ;   in Loop: Header=BB0_634 Depth=2
	s_or_saveexec_b32 s18, s18
	v_mov_b32_e32 v135, s8
	s_xor_b32 exec_lo, exec_lo, s18
	s_cbranch_execnz .LBB0_925
.LBB0_738:                              ;   in Loop: Header=BB0_634 Depth=2
	s_or_b32 exec_lo, exec_lo, s18
	s_and_saveexec_b32 s8, s7
	s_cbranch_execz .LBB0_740
.LBB0_739:                              ;   in Loop: Header=BB0_634 Depth=2
	v_bfe_u32 v135, v87, 24, 3
	s_delay_alu instid0(VALU_DEP_1) | instskip(NEXT) | instid1(VALU_DEP_1)
	v_clz_i32_u32_e32 v144, v135
	v_min_u32_e32 v144, 32, v144
	s_delay_alu instid0(VALU_DEP_1) | instskip(SKIP_1) | instid1(VALU_DEP_2)
	v_subrev_nc_u32_e32 v145, 28, v144
	v_sub_nc_u32_e32 v144, 29, v144
	v_lshlrev_b32_e32 v134, v145, v134
	v_bfe_u32 v145, v87, 27, 4
	v_and_b32_e32 v87, 0x80000000, v87
	s_delay_alu instid0(VALU_DEP_3) | instskip(NEXT) | instid1(VALU_DEP_3)
	v_and_b32_e32 v134, 7, v134
	v_cmp_eq_u32_e32 vcc_lo, 0, v145
	v_cndmask_b32_e32 v144, v145, v144, vcc_lo
	s_delay_alu instid0(VALU_DEP_3) | instskip(NEXT) | instid1(VALU_DEP_2)
	v_cndmask_b32_e32 v134, v135, v134, vcc_lo
	v_lshl_add_u32 v135, v144, 23, 0x3b800000
	s_delay_alu instid0(VALU_DEP_2) | instskip(NEXT) | instid1(VALU_DEP_1)
	v_lshlrev_b32_e32 v134, 20, v134
	v_or3_b32 v135, v87, v135, v134
.LBB0_740:                              ;   in Loop: Header=BB0_634 Depth=2
	s_or_b32 exec_lo, exec_lo, s8
	s_delay_alu instid0(VALU_DEP_1) | instskip(NEXT) | instid1(VALU_DEP_1)
	v_mul_f32_e32 v134, v0, v135
	v_and_b32_e32 v87, 0x7f800000, v134
	s_delay_alu instid0(VALU_DEP_1)
	v_cmp_ne_u32_e32 vcc_lo, 0x7f800000, v87
	v_mov_b32_e32 v87, 0x8000
	s_and_saveexec_b32 s8, vcc_lo
	s_cbranch_execz .LBB0_748
; %bb.741:                              ;   in Loop: Header=BB0_634 Depth=2
	v_mov_b32_e32 v87, 0
	s_mov_b32 s18, exec_lo
	v_cmpx_ne_u32_e32 0, v134
	s_cbranch_execz .LBB0_747
; %bb.742:                              ;   in Loop: Header=BB0_634 Depth=2
	v_bfe_u32 v87, v134, 23, 8
	s_delay_alu instid0(VALU_DEP_1) | instskip(SKIP_1) | instid1(VALU_DEP_2)
	v_sub_nc_u32_e32 v144, 0x78, v87
	v_cmp_gt_u32_e32 vcc_lo, 0x79, v87
	v_dual_cndmask_b32 v144, 0, v144 :: v_dual_and_b32 v135, 0x7fffff, v134
	s_delay_alu instid0(VALU_DEP_1) | instskip(SKIP_2) | instid1(VALU_DEP_4)
	v_or_b32_e32 v145, 0x800000, v135
	v_cmp_eq_u32_e32 vcc_lo, 0, v87
	v_add_nc_u32_e32 v87, 0xffffff89, v87
	v_cndmask_b32_e64 v144, v144, 0x77, vcc_lo
	s_delay_alu instid0(VALU_DEP_4) | instskip(NEXT) | instid1(VALU_DEP_3)
	v_cndmask_b32_e32 v135, v145, v135, vcc_lo
	v_cndmask_b32_e64 v87, v87, 0xffffff8a, vcc_lo
	s_delay_alu instid0(VALU_DEP_3) | instskip(NEXT) | instid1(VALU_DEP_3)
	v_lshl_add_u32 v145, 0x100000, v144, -1
	v_lshrrev_b32_e32 v146, v144, v135
	v_lshlrev_b32_e64 v148, v144, 0x80000
	s_delay_alu instid0(VALU_DEP_4) | instskip(NEXT) | instid1(VALU_DEP_4)
	v_add_nc_u32_e32 v144, v144, v87
	v_and_b32_e32 v135, v145, v135
	s_delay_alu instid0(VALU_DEP_4) | instskip(NEXT) | instid1(VALU_DEP_2)
	v_bfe_u32 v147, v146, 20, 1
	v_cmp_eq_u32_e64 s7, v135, v148
	s_delay_alu instid0(VALU_DEP_2) | instskip(NEXT) | instid1(VALU_DEP_1)
	v_add_nc_u32_e32 v145, -1, v147
	v_cndmask_b32_e64 v135, 0, v145, s7
	v_lshrrev_b32_e32 v145, 23, v146
	s_mov_b32 s7, exec_lo
	s_delay_alu instid0(VALU_DEP_2) | instskip(NEXT) | instid1(VALU_DEP_2)
	v_add_nc_u32_e32 v135, v135, v146
	v_xor_b32_e32 v145, 1, v145
	s_delay_alu instid0(VALU_DEP_2) | instskip(NEXT) | instid1(VALU_DEP_1)
	v_and_b32_e32 v87, 0xfffff, v135
	v_add_nc_u32_e32 v135, v87, v146
                                        ; implicit-def: $vgpr87
	s_delay_alu instid0(VALU_DEP_3)
	v_cmpx_ne_u32_e64 v144, v145
	s_xor_b32 s7, exec_lo, s7
; %bb.743:                              ;   in Loop: Header=BB0_634 Depth=2
	s_delay_alu instid0(VALU_DEP_2) | instskip(SKIP_2) | instid1(VALU_DEP_2)
	v_cmp_lt_u32_e32 vcc_lo, 0xffffff, v135
	v_sub_nc_u32_e32 v87, v144, v145
	v_cndmask_b32_e64 v144, 0, 1, vcc_lo
	v_add_co_ci_u32_e32 v87, vcc_lo, 0, v87, vcc_lo
	s_delay_alu instid0(VALU_DEP_2)
	v_lshrrev_b32_e32 v135, v144, v135
; %bb.744:                              ;   in Loop: Header=BB0_634 Depth=2
	s_and_not1_saveexec_b32 s7, s7
; %bb.745:                              ;   in Loop: Header=BB0_634 Depth=2
	s_delay_alu instid0(VALU_DEP_1)
	v_bfe_u32 v87, v135, 23, 1
; %bb.746:                              ;   in Loop: Header=BB0_634 Depth=2
	s_or_b32 exec_lo, exec_lo, s7
	v_lshrrev_b32_e32 v135, 20, v135
	s_delay_alu instid0(VALU_DEP_2) | instskip(SKIP_2) | instid1(VALU_DEP_2)
	v_cmp_gt_i32_e32 vcc_lo, 16, v87
	v_min_i32_e32 v144, 15, v87
	v_lshrrev_b32_e32 v134, 24, v134
	v_dual_cndmask_b32 v135, 7, v135 :: v_dual_lshlrev_b32 v144, 3, v144
	s_delay_alu instid0(VALU_DEP_2) | instskip(NEXT) | instid1(VALU_DEP_2)
	v_and_b32_e32 v134, 0x80, v134
	v_or_b32_e32 v87, v87, v135
	v_and_b32_e32 v145, 7, v135
	s_delay_alu instid0(VALU_DEP_2) | instskip(SKIP_1) | instid1(VALU_DEP_1)
	v_cmp_ne_u32_e32 vcc_lo, 0, v87
	v_and_b32_e32 v144, 0xf8, v144
	v_or3_b32 v134, v134, v144, v145
	s_delay_alu instid0(VALU_DEP_1) | instskip(NEXT) | instid1(VALU_DEP_1)
	v_lshlrev_b32_e32 v134, 8, v134
	v_cndmask_b32_e32 v87, 0, v134, vcc_lo
.LBB0_747:                              ;   in Loop: Header=BB0_634 Depth=2
	s_or_b32 exec_lo, exec_lo, s18
.LBB0_748:                              ;   in Loop: Header=BB0_634 Depth=2
	s_delay_alu instid0(SALU_CYCLE_1) | instskip(SKIP_3) | instid1(VALU_DEP_1)
	s_or_b32 exec_lo, exec_lo, s8
	v_and_b32_e32 v135, 0xff, v17
	s_mov_b32 s7, 0
	s_mov_b32 s18, exec_lo
                                        ; implicit-def: $sgpr8
	v_cmpx_lt_i16_e64 0x7f, v135
	s_xor_b32 s18, exec_lo, s18
	s_cbranch_execnz .LBB0_926
; %bb.749:                              ;   in Loop: Header=BB0_634 Depth=2
	s_or_saveexec_b32 s18, s18
	v_mov_b32_e32 v134, s8
	s_xor_b32 exec_lo, exec_lo, s18
	s_cbranch_execnz .LBB0_929
.LBB0_750:                              ;   in Loop: Header=BB0_634 Depth=2
	s_or_b32 exec_lo, exec_lo, s18
	s_and_saveexec_b32 s8, s7
	s_cbranch_execz .LBB0_752
.LBB0_751:                              ;   in Loop: Header=BB0_634 Depth=2
	v_bfe_u32 v145, v17, 3, 4
	v_lshlrev_b32_e32 v146, 24, v17
	s_delay_alu instid0(VALU_DEP_2) | instskip(SKIP_1) | instid1(VALU_DEP_1)
	v_cmp_eq_u32_e32 vcc_lo, 0, v145
	v_and_b32_e32 v134, 7, v17
	v_clz_i32_u32_e32 v135, v134
	s_delay_alu instid0(VALU_DEP_1) | instskip(NEXT) | instid1(VALU_DEP_1)
	v_min_u32_e32 v135, 32, v135
	v_subrev_nc_u32_e32 v144, 28, v135
	v_sub_nc_u32_e32 v135, 29, v135
	s_delay_alu instid0(VALU_DEP_1) | instskip(NEXT) | instid1(VALU_DEP_1)
	v_dual_cndmask_b32 v135, v145, v135 :: v_dual_lshlrev_b32 v144, v144, v17
	v_and_b32_e32 v144, 7, v144
	s_delay_alu instid0(VALU_DEP_2) | instskip(NEXT) | instid1(VALU_DEP_2)
	v_lshl_add_u32 v135, v135, 23, 0x3b800000
	v_cndmask_b32_e32 v134, v134, v144, vcc_lo
	v_and_b32_e32 v144, 0x80000000, v146
	s_delay_alu instid0(VALU_DEP_2) | instskip(NEXT) | instid1(VALU_DEP_1)
	v_lshlrev_b32_e32 v134, 20, v134
	v_or3_b32 v134, v144, v135, v134
.LBB0_752:                              ;   in Loop: Header=BB0_634 Depth=2
	s_or_b32 exec_lo, exec_lo, s8
	v_and_b32_e32 v144, 0xff, v20
	s_mov_b32 s7, 0
	s_mov_b32 s18, exec_lo
                                        ; implicit-def: $sgpr8
	s_delay_alu instid0(VALU_DEP_1)
	v_cmpx_lt_i16_e64 0x7f, v144
	s_xor_b32 s18, exec_lo, s18
	s_cbranch_execnz .LBB0_930
; %bb.753:                              ;   in Loop: Header=BB0_634 Depth=2
	s_or_saveexec_b32 s18, s18
	v_mov_b32_e32 v135, s8
	s_xor_b32 exec_lo, exec_lo, s18
	s_cbranch_execnz .LBB0_933
.LBB0_754:                              ;   in Loop: Header=BB0_634 Depth=2
	s_or_b32 exec_lo, exec_lo, s18
	s_and_saveexec_b32 s8, s7
	s_cbranch_execz .LBB0_756
.LBB0_755:                              ;   in Loop: Header=BB0_634 Depth=2
	v_and_b32_e32 v135, 7, v20
	v_bfe_u32 v146, v20, 3, 4
	s_delay_alu instid0(VALU_DEP_2) | instskip(NEXT) | instid1(VALU_DEP_2)
	v_clz_i32_u32_e32 v144, v135
	v_cmp_eq_u32_e32 vcc_lo, 0, v146
	s_delay_alu instid0(VALU_DEP_2) | instskip(NEXT) | instid1(VALU_DEP_1)
	v_min_u32_e32 v144, 32, v144
	v_subrev_nc_u32_e32 v145, 28, v144
	v_sub_nc_u32_e32 v144, 29, v144
	s_delay_alu instid0(VALU_DEP_2) | instskip(NEXT) | instid1(VALU_DEP_1)
	v_lshlrev_b32_e32 v145, v145, v20
	v_dual_cndmask_b32 v144, v146, v144 :: v_dual_and_b32 v145, 7, v145
	v_lshlrev_b32_e32 v20, 24, v20
	s_delay_alu instid0(VALU_DEP_2) | instskip(NEXT) | instid1(VALU_DEP_2)
	v_lshl_add_u32 v144, v144, 23, 0x3b800000
	v_dual_cndmask_b32 v135, v135, v145 :: v_dual_and_b32 v20, 0x80000000, v20
	s_delay_alu instid0(VALU_DEP_1) | instskip(NEXT) | instid1(VALU_DEP_1)
	v_lshlrev_b32_e32 v135, 20, v135
	v_or3_b32 v135, v20, v144, v135
.LBB0_756:                              ;   in Loop: Header=BB0_634 Depth=2
	s_or_b32 exec_lo, exec_lo, s8
	s_delay_alu instid0(VALU_DEP_1) | instskip(NEXT) | instid1(VALU_DEP_1)
	v_add_f32_e32 v134, v134, v135
	v_and_b32_e32 v20, 0x7f800000, v134
	s_delay_alu instid0(VALU_DEP_1)
	v_cmp_ne_u32_e32 vcc_lo, 0x7f800000, v20
	v_mov_b32_e32 v20, 0x80
	s_and_saveexec_b32 s8, vcc_lo
	s_cbranch_execz .LBB0_764
; %bb.757:                              ;   in Loop: Header=BB0_634 Depth=2
	v_mov_b32_e32 v20, 0
	s_mov_b32 s18, exec_lo
	v_cmpx_ne_u32_e32 0, v134
	s_cbranch_execz .LBB0_763
; %bb.758:                              ;   in Loop: Header=BB0_634 Depth=2
	v_bfe_u32 v20, v134, 23, 8
	s_delay_alu instid0(VALU_DEP_1) | instskip(SKIP_1) | instid1(VALU_DEP_2)
	v_sub_nc_u32_e32 v144, 0x78, v20
	v_cmp_gt_u32_e32 vcc_lo, 0x79, v20
	v_dual_cndmask_b32 v144, 0, v144 :: v_dual_and_b32 v135, 0x7fffff, v134
	s_delay_alu instid0(VALU_DEP_1) | instskip(SKIP_2) | instid1(VALU_DEP_4)
	v_or_b32_e32 v145, 0x800000, v135
	v_cmp_eq_u32_e32 vcc_lo, 0, v20
	v_add_nc_u32_e32 v20, 0xffffff89, v20
	v_cndmask_b32_e64 v144, v144, 0x77, vcc_lo
	s_delay_alu instid0(VALU_DEP_4) | instskip(NEXT) | instid1(VALU_DEP_3)
	v_cndmask_b32_e32 v135, v145, v135, vcc_lo
	v_cndmask_b32_e64 v20, v20, 0xffffff8a, vcc_lo
	s_delay_alu instid0(VALU_DEP_3) | instskip(NEXT) | instid1(VALU_DEP_3)
	v_lshl_add_u32 v145, 0x100000, v144, -1
	v_lshrrev_b32_e32 v146, v144, v135
	v_lshlrev_b32_e64 v148, v144, 0x80000
	s_delay_alu instid0(VALU_DEP_4) | instskip(NEXT) | instid1(VALU_DEP_4)
	v_add_nc_u32_e32 v144, v144, v20
	v_and_b32_e32 v135, v145, v135
	s_delay_alu instid0(VALU_DEP_4) | instskip(NEXT) | instid1(VALU_DEP_2)
	v_bfe_u32 v147, v146, 20, 1
	v_cmp_eq_u32_e64 s7, v135, v148
	s_delay_alu instid0(VALU_DEP_2) | instskip(NEXT) | instid1(VALU_DEP_1)
	v_add_nc_u32_e32 v145, -1, v147
	v_cndmask_b32_e64 v135, 0, v145, s7
	v_lshrrev_b32_e32 v145, 23, v146
	s_mov_b32 s7, exec_lo
	s_delay_alu instid0(VALU_DEP_2) | instskip(NEXT) | instid1(VALU_DEP_2)
	v_add_nc_u32_e32 v135, v135, v146
	v_xor_b32_e32 v145, 1, v145
	s_delay_alu instid0(VALU_DEP_2) | instskip(NEXT) | instid1(VALU_DEP_1)
	v_and_b32_e32 v20, 0xfffff, v135
	v_add_nc_u32_e32 v135, v20, v146
                                        ; implicit-def: $vgpr20
	s_delay_alu instid0(VALU_DEP_3)
	v_cmpx_ne_u32_e64 v144, v145
	s_xor_b32 s7, exec_lo, s7
; %bb.759:                              ;   in Loop: Header=BB0_634 Depth=2
	s_delay_alu instid0(VALU_DEP_2) | instskip(SKIP_2) | instid1(VALU_DEP_2)
	v_cmp_lt_u32_e32 vcc_lo, 0xffffff, v135
	v_sub_nc_u32_e32 v20, v144, v145
	v_cndmask_b32_e64 v144, 0, 1, vcc_lo
	v_add_co_ci_u32_e32 v20, vcc_lo, 0, v20, vcc_lo
	s_delay_alu instid0(VALU_DEP_2)
	v_lshrrev_b32_e32 v135, v144, v135
; %bb.760:                              ;   in Loop: Header=BB0_634 Depth=2
	s_and_not1_saveexec_b32 s7, s7
; %bb.761:                              ;   in Loop: Header=BB0_634 Depth=2
	s_delay_alu instid0(VALU_DEP_1)
	v_bfe_u32 v20, v135, 23, 1
; %bb.762:                              ;   in Loop: Header=BB0_634 Depth=2
	s_or_b32 exec_lo, exec_lo, s7
	v_lshrrev_b32_e32 v135, 20, v135
	s_delay_alu instid0(VALU_DEP_2) | instskip(SKIP_2) | instid1(VALU_DEP_2)
	v_cmp_gt_i32_e32 vcc_lo, 16, v20
	v_lshrrev_b32_e32 v134, 24, v134
	v_min_i32_e32 v144, 15, v20
	v_dual_cndmask_b32 v135, 7, v135 :: v_dual_and_b32 v134, 0x80, v134
	s_delay_alu instid0(VALU_DEP_2) | instskip(NEXT) | instid1(VALU_DEP_2)
	v_lshlrev_b32_e32 v144, 3, v144
	v_or_b32_e32 v20, v20, v135
	s_delay_alu instid0(VALU_DEP_1) | instskip(SKIP_1) | instid1(VALU_DEP_1)
	v_cmp_ne_u32_e32 vcc_lo, 0, v20
	v_and_b32_e32 v145, 7, v135
	v_or3_b32 v134, v144, v134, v145
	s_delay_alu instid0(VALU_DEP_1)
	v_cndmask_b32_e32 v20, 0, v134, vcc_lo
.LBB0_763:                              ;   in Loop: Header=BB0_634 Depth=2
	s_or_b32 exec_lo, exec_lo, s18
.LBB0_764:                              ;   in Loop: Header=BB0_634 Depth=2
	s_delay_alu instid0(SALU_CYCLE_1) | instskip(SKIP_3) | instid1(VALU_DEP_1)
	s_or_b32 exec_lo, exec_lo, s8
	v_lshrrev_b16 v135, 8, v17
	s_mov_b32 s7, 0
	s_mov_b32 s18, exec_lo
                                        ; implicit-def: $sgpr8
	v_cmpx_lt_i16_e64 0x7f, v135
	s_xor_b32 s18, exec_lo, s18
	s_cbranch_execnz .LBB0_934
; %bb.765:                              ;   in Loop: Header=BB0_634 Depth=2
	s_or_saveexec_b32 s18, s18
	v_mov_b32_e32 v134, s8
	s_xor_b32 exec_lo, exec_lo, s18
	s_cbranch_execnz .LBB0_937
.LBB0_766:                              ;   in Loop: Header=BB0_634 Depth=2
	s_or_b32 exec_lo, exec_lo, s18
	s_and_saveexec_b32 s8, s7
	s_cbranch_execz .LBB0_768
.LBB0_767:                              ;   in Loop: Header=BB0_634 Depth=2
	v_and_b32_e32 v134, 0xffff, v135
	s_delay_alu instid0(VALU_DEP_1) | instskip(NEXT) | instid1(VALU_DEP_1)
	v_and_b32_e32 v144, 7, v134
	v_clz_i32_u32_e32 v145, v144
	s_delay_alu instid0(VALU_DEP_1) | instskip(NEXT) | instid1(VALU_DEP_1)
	v_min_u32_e32 v145, 32, v145
	v_subrev_nc_u32_e32 v146, 28, v145
	v_sub_nc_u32_e32 v145, 29, v145
	s_delay_alu instid0(VALU_DEP_2) | instskip(SKIP_1) | instid1(VALU_DEP_2)
	v_lshlrev_b32_e32 v146, v146, v134
	v_bfe_u32 v134, v134, 3, 4
	v_and_b32_e32 v146, 7, v146
	s_delay_alu instid0(VALU_DEP_2) | instskip(SKIP_1) | instid1(VALU_DEP_1)
	v_cmp_eq_u32_e32 vcc_lo, 0, v134
	v_dual_cndmask_b32 v134, v134, v145 :: v_dual_lshlrev_b32 v135, 24, v135
	v_dual_cndmask_b32 v144, v144, v146 :: v_dual_and_b32 v135, 0x80000000, v135
	s_delay_alu instid0(VALU_DEP_2) | instskip(NEXT) | instid1(VALU_DEP_2)
	v_lshl_add_u32 v134, v134, 23, 0x3b800000
	v_lshlrev_b32_e32 v144, 20, v144
	s_delay_alu instid0(VALU_DEP_1)
	v_or3_b32 v134, v135, v134, v144
.LBB0_768:                              ;   in Loop: Header=BB0_634 Depth=2
	s_or_b32 exec_lo, exec_lo, s8
	v_and_b32_e32 v144, 0xff, v82
	s_mov_b32 s7, 0
	s_mov_b32 s18, exec_lo
                                        ; implicit-def: $sgpr8
	s_delay_alu instid0(VALU_DEP_1)
	v_cmpx_lt_i16_e64 0x7f, v144
	s_xor_b32 s18, exec_lo, s18
	s_cbranch_execnz .LBB0_938
; %bb.769:                              ;   in Loop: Header=BB0_634 Depth=2
	s_or_saveexec_b32 s18, s18
	v_mov_b32_e32 v135, s8
	s_xor_b32 exec_lo, exec_lo, s18
	s_cbranch_execnz .LBB0_941
.LBB0_770:                              ;   in Loop: Header=BB0_634 Depth=2
	s_or_b32 exec_lo, exec_lo, s18
	s_and_saveexec_b32 s8, s7
	s_cbranch_execz .LBB0_772
.LBB0_771:                              ;   in Loop: Header=BB0_634 Depth=2
	v_bfe_u32 v146, v82, 3, 4
	s_delay_alu instid0(VALU_DEP_1) | instskip(SKIP_1) | instid1(VALU_DEP_1)
	v_cmp_eq_u32_e32 vcc_lo, 0, v146
	v_and_b32_e32 v135, 7, v82
	v_clz_i32_u32_e32 v144, v135
	s_delay_alu instid0(VALU_DEP_1) | instskip(NEXT) | instid1(VALU_DEP_1)
	v_min_u32_e32 v144, 32, v144
	v_subrev_nc_u32_e32 v145, 28, v144
	v_sub_nc_u32_e32 v144, 29, v144
	s_delay_alu instid0(VALU_DEP_1) | instskip(NEXT) | instid1(VALU_DEP_1)
	v_dual_cndmask_b32 v144, v146, v144 :: v_dual_lshlrev_b32 v145, v145, v82
	v_and_b32_e32 v145, 7, v145
	v_lshlrev_b32_e32 v82, 24, v82
	s_delay_alu instid0(VALU_DEP_3) | instskip(NEXT) | instid1(VALU_DEP_2)
	v_lshl_add_u32 v144, v144, 23, 0x3b800000
	v_dual_cndmask_b32 v135, v135, v145 :: v_dual_and_b32 v82, 0x80000000, v82
	s_delay_alu instid0(VALU_DEP_1) | instskip(NEXT) | instid1(VALU_DEP_1)
	v_lshlrev_b32_e32 v135, 20, v135
	v_or3_b32 v135, v82, v144, v135
.LBB0_772:                              ;   in Loop: Header=BB0_634 Depth=2
	s_or_b32 exec_lo, exec_lo, s8
	s_delay_alu instid0(VALU_DEP_1) | instskip(NEXT) | instid1(VALU_DEP_1)
	v_add_f32_e32 v134, v134, v135
	v_and_b32_e32 v82, 0x7f800000, v134
	s_delay_alu instid0(VALU_DEP_1)
	v_cmp_ne_u32_e32 vcc_lo, 0x7f800000, v82
	v_mov_b32_e32 v82, 0x80
	s_and_saveexec_b32 s8, vcc_lo
	s_cbranch_execz .LBB0_780
; %bb.773:                              ;   in Loop: Header=BB0_634 Depth=2
	v_mov_b32_e32 v82, 0
	s_mov_b32 s18, exec_lo
	v_cmpx_ne_u32_e32 0, v134
	s_cbranch_execz .LBB0_779
; %bb.774:                              ;   in Loop: Header=BB0_634 Depth=2
	v_bfe_u32 v82, v134, 23, 8
	s_delay_alu instid0(VALU_DEP_1) | instskip(SKIP_1) | instid1(VALU_DEP_2)
	v_sub_nc_u32_e32 v144, 0x78, v82
	v_cmp_gt_u32_e32 vcc_lo, 0x79, v82
	v_dual_cndmask_b32 v144, 0, v144 :: v_dual_and_b32 v135, 0x7fffff, v134
	s_delay_alu instid0(VALU_DEP_1) | instskip(SKIP_2) | instid1(VALU_DEP_4)
	v_or_b32_e32 v145, 0x800000, v135
	v_cmp_eq_u32_e32 vcc_lo, 0, v82
	v_add_nc_u32_e32 v82, 0xffffff89, v82
	v_cndmask_b32_e64 v144, v144, 0x77, vcc_lo
	s_delay_alu instid0(VALU_DEP_4) | instskip(NEXT) | instid1(VALU_DEP_3)
	v_cndmask_b32_e32 v135, v145, v135, vcc_lo
	v_cndmask_b32_e64 v82, v82, 0xffffff8a, vcc_lo
	s_delay_alu instid0(VALU_DEP_3) | instskip(NEXT) | instid1(VALU_DEP_3)
	v_lshl_add_u32 v145, 0x100000, v144, -1
	v_lshrrev_b32_e32 v146, v144, v135
	v_lshlrev_b32_e64 v148, v144, 0x80000
	s_delay_alu instid0(VALU_DEP_4) | instskip(NEXT) | instid1(VALU_DEP_4)
	v_add_nc_u32_e32 v144, v144, v82
	v_and_b32_e32 v135, v145, v135
	s_delay_alu instid0(VALU_DEP_4) | instskip(NEXT) | instid1(VALU_DEP_2)
	v_bfe_u32 v147, v146, 20, 1
	v_cmp_eq_u32_e64 s7, v135, v148
	s_delay_alu instid0(VALU_DEP_2) | instskip(NEXT) | instid1(VALU_DEP_1)
	v_add_nc_u32_e32 v145, -1, v147
	v_cndmask_b32_e64 v135, 0, v145, s7
	v_lshrrev_b32_e32 v145, 23, v146
	s_mov_b32 s7, exec_lo
	s_delay_alu instid0(VALU_DEP_2) | instskip(NEXT) | instid1(VALU_DEP_2)
	v_add_nc_u32_e32 v135, v135, v146
	v_xor_b32_e32 v145, 1, v145
	s_delay_alu instid0(VALU_DEP_2) | instskip(NEXT) | instid1(VALU_DEP_1)
	v_and_b32_e32 v82, 0xfffff, v135
	v_add_nc_u32_e32 v135, v82, v146
                                        ; implicit-def: $vgpr82
	s_delay_alu instid0(VALU_DEP_3)
	v_cmpx_ne_u32_e64 v144, v145
	s_xor_b32 s7, exec_lo, s7
; %bb.775:                              ;   in Loop: Header=BB0_634 Depth=2
	s_delay_alu instid0(VALU_DEP_2) | instskip(SKIP_2) | instid1(VALU_DEP_2)
	v_cmp_lt_u32_e32 vcc_lo, 0xffffff, v135
	v_sub_nc_u32_e32 v82, v144, v145
	v_cndmask_b32_e64 v144, 0, 1, vcc_lo
	v_add_co_ci_u32_e32 v82, vcc_lo, 0, v82, vcc_lo
	s_delay_alu instid0(VALU_DEP_2)
	v_lshrrev_b32_e32 v135, v144, v135
; %bb.776:                              ;   in Loop: Header=BB0_634 Depth=2
	s_and_not1_saveexec_b32 s7, s7
; %bb.777:                              ;   in Loop: Header=BB0_634 Depth=2
	s_delay_alu instid0(VALU_DEP_1)
	v_bfe_u32 v82, v135, 23, 1
; %bb.778:                              ;   in Loop: Header=BB0_634 Depth=2
	s_or_b32 exec_lo, exec_lo, s7
	v_lshrrev_b32_e32 v135, 20, v135
	s_delay_alu instid0(VALU_DEP_2) | instskip(SKIP_2) | instid1(VALU_DEP_2)
	v_cmp_gt_i32_e32 vcc_lo, 16, v82
	v_lshrrev_b32_e32 v134, 24, v134
	v_min_i32_e32 v144, 15, v82
	v_dual_cndmask_b32 v135, 7, v135 :: v_dual_and_b32 v134, 0x80, v134
	s_delay_alu instid0(VALU_DEP_2) | instskip(NEXT) | instid1(VALU_DEP_2)
	v_lshlrev_b32_e32 v144, 3, v144
	v_or_b32_e32 v82, v82, v135
	s_delay_alu instid0(VALU_DEP_1) | instskip(SKIP_1) | instid1(VALU_DEP_1)
	v_cmp_ne_u32_e32 vcc_lo, 0, v82
	v_and_b32_e32 v145, 7, v135
	v_or3_b32 v134, v144, v134, v145
	s_delay_alu instid0(VALU_DEP_1)
	v_cndmask_b32_e32 v82, 0, v134, vcc_lo
.LBB0_779:                              ;   in Loop: Header=BB0_634 Depth=2
	s_or_b32 exec_lo, exec_lo, s18
.LBB0_780:                              ;   in Loop: Header=BB0_634 Depth=2
	s_delay_alu instid0(SALU_CYCLE_1) | instskip(SKIP_3) | instid1(VALU_DEP_1)
	s_or_b32 exec_lo, exec_lo, s8
	v_lshrrev_b32_e32 v135, 16, v17
	s_mov_b32 s7, 0
	s_mov_b32 s18, exec_lo
                                        ; implicit-def: $sgpr8
	v_and_b32_e32 v144, 0xff, v135
	s_delay_alu instid0(VALU_DEP_1)
	v_cmpx_lt_i16_e64 0x7f, v144
	s_xor_b32 s18, exec_lo, s18
	s_cbranch_execnz .LBB0_942
; %bb.781:                              ;   in Loop: Header=BB0_634 Depth=2
	s_or_saveexec_b32 s18, s18
	v_mov_b32_e32 v134, s8
	s_xor_b32 exec_lo, exec_lo, s18
	s_cbranch_execnz .LBB0_945
.LBB0_782:                              ;   in Loop: Header=BB0_634 Depth=2
	s_or_b32 exec_lo, exec_lo, s18
	s_and_saveexec_b32 s8, s7
	s_cbranch_execz .LBB0_784
.LBB0_783:                              ;   in Loop: Header=BB0_634 Depth=2
	v_bfe_u32 v134, v17, 16, 3
	v_lshlrev_b32_e32 v146, 8, v17
	s_delay_alu instid0(VALU_DEP_2) | instskip(NEXT) | instid1(VALU_DEP_1)
	v_clz_i32_u32_e32 v144, v134
	v_min_u32_e32 v144, 32, v144
	s_delay_alu instid0(VALU_DEP_1) | instskip(SKIP_1) | instid1(VALU_DEP_2)
	v_subrev_nc_u32_e32 v145, 28, v144
	v_sub_nc_u32_e32 v144, 29, v144
	v_lshlrev_b32_e32 v135, v145, v135
	v_bfe_u32 v145, v17, 19, 4
	s_delay_alu instid0(VALU_DEP_1) | instskip(NEXT) | instid1(VALU_DEP_3)
	v_cmp_eq_u32_e32 vcc_lo, 0, v145
	v_dual_cndmask_b32 v144, v145, v144 :: v_dual_and_b32 v135, 7, v135
	s_delay_alu instid0(VALU_DEP_1) | instskip(NEXT) | instid1(VALU_DEP_2)
	v_dual_cndmask_b32 v134, v134, v135 :: v_dual_and_b32 v135, 0x80000000, v146
	v_lshl_add_u32 v144, v144, 23, 0x3b800000
	s_delay_alu instid0(VALU_DEP_2) | instskip(NEXT) | instid1(VALU_DEP_1)
	v_lshlrev_b32_e32 v134, 20, v134
	v_or3_b32 v134, v135, v144, v134
.LBB0_784:                              ;   in Loop: Header=BB0_634 Depth=2
	s_or_b32 exec_lo, exec_lo, s8
	v_and_b32_e32 v144, 0xff, v97
	s_mov_b32 s7, 0
	s_mov_b32 s18, exec_lo
                                        ; implicit-def: $sgpr8
	s_delay_alu instid0(VALU_DEP_1)
	v_cmpx_lt_i16_e64 0x7f, v144
	s_xor_b32 s18, exec_lo, s18
	s_cbranch_execnz .LBB0_946
; %bb.785:                              ;   in Loop: Header=BB0_634 Depth=2
	s_or_saveexec_b32 s18, s18
	v_mov_b32_e32 v135, s8
	s_xor_b32 exec_lo, exec_lo, s18
	s_cbranch_execnz .LBB0_949
.LBB0_786:                              ;   in Loop: Header=BB0_634 Depth=2
	s_or_b32 exec_lo, exec_lo, s18
	s_and_saveexec_b32 s8, s7
	s_cbranch_execz .LBB0_788
.LBB0_787:                              ;   in Loop: Header=BB0_634 Depth=2
	v_bfe_u32 v146, v97, 3, 4
	s_delay_alu instid0(VALU_DEP_1) | instskip(SKIP_1) | instid1(VALU_DEP_1)
	v_cmp_eq_u32_e32 vcc_lo, 0, v146
	v_and_b32_e32 v135, 7, v97
	v_clz_i32_u32_e32 v144, v135
	s_delay_alu instid0(VALU_DEP_1) | instskip(NEXT) | instid1(VALU_DEP_1)
	v_min_u32_e32 v144, 32, v144
	v_subrev_nc_u32_e32 v145, 28, v144
	v_sub_nc_u32_e32 v144, 29, v144
	s_delay_alu instid0(VALU_DEP_1) | instskip(SKIP_1) | instid1(VALU_DEP_2)
	v_dual_cndmask_b32 v144, v146, v144 :: v_dual_lshlrev_b32 v145, v145, v97
	v_lshlrev_b32_e32 v97, 24, v97
	v_and_b32_e32 v145, 7, v145
	s_delay_alu instid0(VALU_DEP_3) | instskip(NEXT) | instid1(VALU_DEP_3)
	v_lshl_add_u32 v144, v144, 23, 0x3b800000
	v_and_b32_e32 v97, 0x80000000, v97
	s_delay_alu instid0(VALU_DEP_3) | instskip(NEXT) | instid1(VALU_DEP_1)
	v_cndmask_b32_e32 v135, v135, v145, vcc_lo
	v_lshlrev_b32_e32 v135, 20, v135
	s_delay_alu instid0(VALU_DEP_1)
	v_or3_b32 v135, v97, v144, v135
.LBB0_788:                              ;   in Loop: Header=BB0_634 Depth=2
	s_or_b32 exec_lo, exec_lo, s8
	s_delay_alu instid0(VALU_DEP_1) | instskip(NEXT) | instid1(VALU_DEP_1)
	v_add_f32_e32 v134, v134, v135
	v_and_b32_e32 v97, 0x7f800000, v134
	s_delay_alu instid0(VALU_DEP_1)
	v_cmp_ne_u32_e32 vcc_lo, 0x7f800000, v97
	v_mov_b32_e32 v97, 0x80
	s_and_saveexec_b32 s8, vcc_lo
	s_cbranch_execz .LBB0_796
; %bb.789:                              ;   in Loop: Header=BB0_634 Depth=2
	v_mov_b32_e32 v97, 0
	s_mov_b32 s18, exec_lo
	v_cmpx_ne_u32_e32 0, v134
	s_cbranch_execz .LBB0_795
; %bb.790:                              ;   in Loop: Header=BB0_634 Depth=2
	v_bfe_u32 v97, v134, 23, 8
	s_delay_alu instid0(VALU_DEP_1) | instskip(SKIP_1) | instid1(VALU_DEP_2)
	v_sub_nc_u32_e32 v144, 0x78, v97
	v_cmp_gt_u32_e32 vcc_lo, 0x79, v97
	v_dual_cndmask_b32 v144, 0, v144 :: v_dual_and_b32 v135, 0x7fffff, v134
	s_delay_alu instid0(VALU_DEP_1) | instskip(SKIP_2) | instid1(VALU_DEP_4)
	v_or_b32_e32 v145, 0x800000, v135
	v_cmp_eq_u32_e32 vcc_lo, 0, v97
	v_add_nc_u32_e32 v97, 0xffffff89, v97
	v_cndmask_b32_e64 v144, v144, 0x77, vcc_lo
	s_delay_alu instid0(VALU_DEP_2) | instskip(SKIP_1) | instid1(VALU_DEP_3)
	v_cndmask_b32_e64 v97, v97, 0xffffff8a, vcc_lo
	v_cndmask_b32_e32 v135, v145, v135, vcc_lo
	v_lshl_add_u32 v145, 0x100000, v144, -1
	v_lshlrev_b32_e64 v148, v144, 0x80000
	s_delay_alu instid0(VALU_DEP_3) | instskip(SKIP_1) | instid1(VALU_DEP_4)
	v_lshrrev_b32_e32 v146, v144, v135
	v_add_nc_u32_e32 v144, v144, v97
	v_and_b32_e32 v135, v145, v135
	s_delay_alu instid0(VALU_DEP_3) | instskip(NEXT) | instid1(VALU_DEP_2)
	v_bfe_u32 v147, v146, 20, 1
	v_cmp_eq_u32_e64 s7, v135, v148
	s_delay_alu instid0(VALU_DEP_2) | instskip(NEXT) | instid1(VALU_DEP_1)
	v_add_nc_u32_e32 v145, -1, v147
	v_cndmask_b32_e64 v135, 0, v145, s7
	v_lshrrev_b32_e32 v145, 23, v146
	s_mov_b32 s7, exec_lo
	s_delay_alu instid0(VALU_DEP_2) | instskip(NEXT) | instid1(VALU_DEP_2)
	v_add_nc_u32_e32 v135, v135, v146
	v_xor_b32_e32 v145, 1, v145
	s_delay_alu instid0(VALU_DEP_2) | instskip(NEXT) | instid1(VALU_DEP_1)
	v_and_b32_e32 v97, 0xfffff, v135
	v_add_nc_u32_e32 v135, v97, v146
                                        ; implicit-def: $vgpr97
	s_delay_alu instid0(VALU_DEP_3)
	v_cmpx_ne_u32_e64 v144, v145
	s_xor_b32 s7, exec_lo, s7
; %bb.791:                              ;   in Loop: Header=BB0_634 Depth=2
	s_delay_alu instid0(VALU_DEP_2) | instskip(SKIP_2) | instid1(VALU_DEP_2)
	v_cmp_lt_u32_e32 vcc_lo, 0xffffff, v135
	v_sub_nc_u32_e32 v97, v144, v145
	v_cndmask_b32_e64 v144, 0, 1, vcc_lo
	v_add_co_ci_u32_e32 v97, vcc_lo, 0, v97, vcc_lo
	s_delay_alu instid0(VALU_DEP_2)
	v_lshrrev_b32_e32 v135, v144, v135
; %bb.792:                              ;   in Loop: Header=BB0_634 Depth=2
	s_and_not1_saveexec_b32 s7, s7
; %bb.793:                              ;   in Loop: Header=BB0_634 Depth=2
	s_delay_alu instid0(VALU_DEP_1)
	v_bfe_u32 v97, v135, 23, 1
; %bb.794:                              ;   in Loop: Header=BB0_634 Depth=2
	s_or_b32 exec_lo, exec_lo, s7
	v_lshrrev_b32_e32 v135, 20, v135
	s_delay_alu instid0(VALU_DEP_2) | instskip(SKIP_2) | instid1(VALU_DEP_2)
	v_cmp_gt_i32_e32 vcc_lo, 16, v97
	v_lshrrev_b32_e32 v134, 24, v134
	v_min_i32_e32 v144, 15, v97
	v_dual_cndmask_b32 v135, 7, v135 :: v_dual_and_b32 v134, 0x80, v134
	s_delay_alu instid0(VALU_DEP_1) | instskip(SKIP_1) | instid1(VALU_DEP_2)
	v_or_b32_e32 v97, v97, v135
	v_and_b32_e32 v145, 7, v135
	v_cmp_ne_u32_e32 vcc_lo, 0, v97
	v_lshlrev_b32_e32 v144, 3, v144
	s_delay_alu instid0(VALU_DEP_1) | instskip(NEXT) | instid1(VALU_DEP_1)
	v_or3_b32 v134, v144, v134, v145
	v_cndmask_b32_e32 v97, 0, v134, vcc_lo
.LBB0_795:                              ;   in Loop: Header=BB0_634 Depth=2
	s_or_b32 exec_lo, exec_lo, s18
.LBB0_796:                              ;   in Loop: Header=BB0_634 Depth=2
	s_delay_alu instid0(SALU_CYCLE_1) | instskip(SKIP_3) | instid1(VALU_DEP_1)
	s_or_b32 exec_lo, exec_lo, s8
	v_lshrrev_b32_e32 v135, 24, v17
	s_mov_b32 s7, 0
	s_mov_b32 s18, exec_lo
                                        ; implicit-def: $sgpr8
	v_cmpx_lt_i16_e64 0x7f, v135
	s_xor_b32 s18, exec_lo, s18
	s_cbranch_execnz .LBB0_950
; %bb.797:                              ;   in Loop: Header=BB0_634 Depth=2
	s_or_saveexec_b32 s18, s18
	v_mov_b32_e32 v134, s8
	s_xor_b32 exec_lo, exec_lo, s18
	s_cbranch_execnz .LBB0_953
.LBB0_798:                              ;   in Loop: Header=BB0_634 Depth=2
	s_or_b32 exec_lo, exec_lo, s18
	s_and_saveexec_b32 s8, s7
	s_cbranch_execz .LBB0_800
.LBB0_799:                              ;   in Loop: Header=BB0_634 Depth=2
	v_bfe_u32 v134, v17, 24, 3
	s_delay_alu instid0(VALU_DEP_1) | instskip(NEXT) | instid1(VALU_DEP_1)
	v_clz_i32_u32_e32 v144, v134
	v_min_u32_e32 v144, 32, v144
	s_delay_alu instid0(VALU_DEP_1) | instskip(SKIP_1) | instid1(VALU_DEP_2)
	v_subrev_nc_u32_e32 v145, 28, v144
	v_sub_nc_u32_e32 v144, 29, v144
	v_lshlrev_b32_e32 v135, v145, v135
	v_bfe_u32 v145, v17, 27, 4
	v_and_b32_e32 v17, 0x80000000, v17
	s_delay_alu instid0(VALU_DEP_2) | instskip(NEXT) | instid1(VALU_DEP_4)
	v_cmp_eq_u32_e32 vcc_lo, 0, v145
	v_dual_cndmask_b32 v144, v145, v144 :: v_dual_and_b32 v135, 7, v135
	s_delay_alu instid0(VALU_DEP_1) | instskip(NEXT) | instid1(VALU_DEP_2)
	v_cndmask_b32_e32 v134, v134, v135, vcc_lo
	v_lshl_add_u32 v135, v144, 23, 0x3b800000
	s_delay_alu instid0(VALU_DEP_2) | instskip(NEXT) | instid1(VALU_DEP_1)
	v_lshlrev_b32_e32 v134, 20, v134
	v_or3_b32 v134, v17, v135, v134
.LBB0_800:                              ;   in Loop: Header=BB0_634 Depth=2
	s_or_b32 exec_lo, exec_lo, s8
	v_and_b32_e32 v17, 0xff, v96
	s_mov_b32 s7, 0
	s_mov_b32 s18, exec_lo
                                        ; implicit-def: $sgpr8
	s_delay_alu instid0(VALU_DEP_1)
	v_cmpx_lt_i16_e32 0x7f, v17
	s_xor_b32 s18, exec_lo, s18
	s_cbranch_execnz .LBB0_954
; %bb.801:                              ;   in Loop: Header=BB0_634 Depth=2
	s_or_saveexec_b32 s18, s18
	v_mov_b32_e32 v135, s8
	s_xor_b32 exec_lo, exec_lo, s18
	s_cbranch_execnz .LBB0_957
.LBB0_802:                              ;   in Loop: Header=BB0_634 Depth=2
	s_or_b32 exec_lo, exec_lo, s18
	s_and_saveexec_b32 s8, s7
	s_cbranch_execz .LBB0_804
.LBB0_803:                              ;   in Loop: Header=BB0_634 Depth=2
	v_lshlrev_b32_e32 v96, 8, v96
	s_delay_alu instid0(VALU_DEP_1) | instskip(SKIP_1) | instid1(VALU_DEP_2)
	v_and_b32_e32 v135, 0xff00, v96
	v_bfe_u32 v96, v96, 11, 4
	v_bfe_u32 v144, v135, 8, 3
	s_delay_alu instid0(VALU_DEP_2) | instskip(NEXT) | instid1(VALU_DEP_2)
	v_cmp_eq_u32_e32 vcc_lo, 0, v96
	v_clz_i32_u32_e32 v145, v144
	s_delay_alu instid0(VALU_DEP_1) | instskip(NEXT) | instid1(VALU_DEP_1)
	v_min_u32_e32 v145, 32, v145
	v_subrev_nc_u32_e32 v146, 28, v145
	v_sub_nc_u32_e32 v145, 29, v145
	s_delay_alu instid0(VALU_DEP_2) | instskip(NEXT) | instid1(VALU_DEP_2)
	v_lshlrev_b32_e32 v17, v146, v17
	v_dual_cndmask_b32 v96, v96, v145 :: v_dual_lshlrev_b32 v135, 16, v135
	s_delay_alu instid0(VALU_DEP_2) | instskip(NEXT) | instid1(VALU_DEP_2)
	v_and_b32_e32 v17, 7, v17
	v_lshl_add_u32 v96, v96, 23, 0x3b800000
	s_delay_alu instid0(VALU_DEP_3) | instskip(NEXT) | instid1(VALU_DEP_3)
	v_and_b32_e32 v135, 0x80000000, v135
	v_cndmask_b32_e32 v17, v144, v17, vcc_lo
	s_delay_alu instid0(VALU_DEP_1) | instskip(NEXT) | instid1(VALU_DEP_1)
	v_lshlrev_b32_e32 v17, 20, v17
	v_or3_b32 v135, v135, v96, v17
.LBB0_804:                              ;   in Loop: Header=BB0_634 Depth=2
	s_or_b32 exec_lo, exec_lo, s8
	s_delay_alu instid0(VALU_DEP_1) | instskip(NEXT) | instid1(VALU_DEP_1)
	v_add_f32_e32 v96, v134, v135
	v_and_b32_e32 v17, 0x7f800000, v96
	s_delay_alu instid0(VALU_DEP_1)
	v_cmp_ne_u32_e32 vcc_lo, 0x7f800000, v17
	v_mov_b32_e32 v17, 0x80
	s_and_saveexec_b32 s8, vcc_lo
	s_cbranch_execz .LBB0_812
; %bb.805:                              ;   in Loop: Header=BB0_634 Depth=2
	v_mov_b32_e32 v17, 0
	s_mov_b32 s18, exec_lo
	v_cmpx_ne_u32_e32 0, v96
	s_cbranch_execz .LBB0_811
; %bb.806:                              ;   in Loop: Header=BB0_634 Depth=2
	v_bfe_u32 v17, v96, 23, 8
	s_delay_alu instid0(VALU_DEP_1) | instskip(SKIP_1) | instid1(VALU_DEP_2)
	v_sub_nc_u32_e32 v135, 0x78, v17
	v_cmp_gt_u32_e32 vcc_lo, 0x79, v17
	v_dual_cndmask_b32 v135, 0, v135 :: v_dual_and_b32 v134, 0x7fffff, v96
	s_delay_alu instid0(VALU_DEP_1) | instskip(SKIP_2) | instid1(VALU_DEP_4)
	v_or_b32_e32 v144, 0x800000, v134
	v_cmp_eq_u32_e32 vcc_lo, 0, v17
	v_add_nc_u32_e32 v17, 0xffffff89, v17
	v_cndmask_b32_e64 v135, v135, 0x77, vcc_lo
	s_delay_alu instid0(VALU_DEP_4) | instskip(NEXT) | instid1(VALU_DEP_3)
	v_cndmask_b32_e32 v134, v144, v134, vcc_lo
	v_cndmask_b32_e64 v17, v17, 0xffffff8a, vcc_lo
	s_delay_alu instid0(VALU_DEP_3) | instskip(NEXT) | instid1(VALU_DEP_3)
	v_lshl_add_u32 v144, 0x100000, v135, -1
	v_lshrrev_b32_e32 v145, v135, v134
	v_lshlrev_b32_e64 v147, v135, 0x80000
	s_delay_alu instid0(VALU_DEP_4) | instskip(NEXT) | instid1(VALU_DEP_4)
	v_add_nc_u32_e32 v135, v135, v17
	v_and_b32_e32 v134, v144, v134
	s_delay_alu instid0(VALU_DEP_4) | instskip(NEXT) | instid1(VALU_DEP_2)
	v_bfe_u32 v146, v145, 20, 1
	v_cmp_eq_u32_e64 s7, v134, v147
	s_delay_alu instid0(VALU_DEP_2) | instskip(NEXT) | instid1(VALU_DEP_1)
	v_add_nc_u32_e32 v144, -1, v146
	v_cndmask_b32_e64 v134, 0, v144, s7
	v_lshrrev_b32_e32 v144, 23, v145
	s_mov_b32 s7, exec_lo
	s_delay_alu instid0(VALU_DEP_2) | instskip(NEXT) | instid1(VALU_DEP_2)
	v_add_nc_u32_e32 v134, v134, v145
	v_xor_b32_e32 v144, 1, v144
	s_delay_alu instid0(VALU_DEP_2) | instskip(NEXT) | instid1(VALU_DEP_1)
	v_and_b32_e32 v17, 0xfffff, v134
	v_add_nc_u32_e32 v134, v17, v145
                                        ; implicit-def: $vgpr17
	s_delay_alu instid0(VALU_DEP_3)
	v_cmpx_ne_u32_e64 v135, v144
	s_xor_b32 s7, exec_lo, s7
; %bb.807:                              ;   in Loop: Header=BB0_634 Depth=2
	s_delay_alu instid0(VALU_DEP_2) | instskip(SKIP_2) | instid1(VALU_DEP_2)
	v_cmp_lt_u32_e32 vcc_lo, 0xffffff, v134
	v_sub_nc_u32_e32 v17, v135, v144
	v_cndmask_b32_e64 v135, 0, 1, vcc_lo
	v_add_co_ci_u32_e32 v17, vcc_lo, 0, v17, vcc_lo
	s_delay_alu instid0(VALU_DEP_2)
	v_lshrrev_b32_e32 v134, v135, v134
; %bb.808:                              ;   in Loop: Header=BB0_634 Depth=2
	s_and_not1_saveexec_b32 s7, s7
; %bb.809:                              ;   in Loop: Header=BB0_634 Depth=2
	s_delay_alu instid0(VALU_DEP_1)
	v_bfe_u32 v17, v134, 23, 1
; %bb.810:                              ;   in Loop: Header=BB0_634 Depth=2
	s_or_b32 exec_lo, exec_lo, s7
	v_lshrrev_b32_e32 v134, 20, v134
	s_delay_alu instid0(VALU_DEP_2) | instskip(SKIP_2) | instid1(VALU_DEP_2)
	v_cmp_gt_i32_e32 vcc_lo, 16, v17
	v_min_i32_e32 v135, 15, v17
	v_lshrrev_b32_e32 v96, 24, v96
	v_dual_cndmask_b32 v134, 7, v134 :: v_dual_lshlrev_b32 v135, 3, v135
	s_delay_alu instid0(VALU_DEP_2) | instskip(NEXT) | instid1(VALU_DEP_2)
	v_and_b32_e32 v96, 0x80, v96
	v_or_b32_e32 v17, v17, v134
	s_delay_alu instid0(VALU_DEP_1) | instskip(SKIP_1) | instid1(VALU_DEP_1)
	v_cmp_ne_u32_e32 vcc_lo, 0, v17
	v_and_b32_e32 v144, 7, v134
	v_or3_b32 v96, v135, v96, v144
	s_delay_alu instid0(VALU_DEP_1)
	v_cndmask_b32_e32 v17, 0, v96, vcc_lo
.LBB0_811:                              ;   in Loop: Header=BB0_634 Depth=2
	s_or_b32 exec_lo, exec_lo, s18
.LBB0_812:                              ;   in Loop: Header=BB0_634 Depth=2
	s_delay_alu instid0(SALU_CYCLE_1) | instskip(SKIP_3) | instid1(VALU_DEP_1)
	s_or_b32 exec_lo, exec_lo, s8
	v_and_b32_e32 v96, 0xff, v19
	s_mov_b32 s7, 0
	s_mov_b32 s18, exec_lo
                                        ; implicit-def: $sgpr8
	v_cmpx_lt_i16_e32 0x7f, v96
	s_xor_b32 s18, exec_lo, s18
	s_cbranch_execnz .LBB0_958
; %bb.813:                              ;   in Loop: Header=BB0_634 Depth=2
	s_or_saveexec_b32 s18, s18
	v_mov_b32_e32 v134, s8
	s_xor_b32 exec_lo, exec_lo, s18
	s_cbranch_execnz .LBB0_961
.LBB0_814:                              ;   in Loop: Header=BB0_634 Depth=2
	s_or_b32 exec_lo, exec_lo, s18
	s_and_saveexec_b32 s8, s7
	s_cbranch_execz .LBB0_816
.LBB0_815:                              ;   in Loop: Header=BB0_634 Depth=2
	v_and_b32_e32 v96, 7, v19
	v_bfe_u32 v144, v19, 3, 4
	v_lshlrev_b32_e32 v145, 24, v19
	s_delay_alu instid0(VALU_DEP_3) | instskip(NEXT) | instid1(VALU_DEP_3)
	v_clz_i32_u32_e32 v134, v96
	v_cmp_eq_u32_e32 vcc_lo, 0, v144
	s_delay_alu instid0(VALU_DEP_2) | instskip(NEXT) | instid1(VALU_DEP_1)
	v_min_u32_e32 v134, 32, v134
	v_subrev_nc_u32_e32 v135, 28, v134
	v_sub_nc_u32_e32 v134, 29, v134
	s_delay_alu instid0(VALU_DEP_1) | instskip(NEXT) | instid1(VALU_DEP_1)
	v_dual_cndmask_b32 v134, v144, v134 :: v_dual_lshlrev_b32 v135, v135, v19
	v_and_b32_e32 v135, 7, v135
	s_delay_alu instid0(VALU_DEP_2) | instskip(NEXT) | instid1(VALU_DEP_2)
	v_lshl_add_u32 v134, v134, 23, 0x3b800000
	v_dual_cndmask_b32 v96, v96, v135 :: v_dual_and_b32 v135, 0x80000000, v145
	s_delay_alu instid0(VALU_DEP_1) | instskip(NEXT) | instid1(VALU_DEP_1)
	v_lshlrev_b32_e32 v96, 20, v96
	v_or3_b32 v134, v135, v134, v96
.LBB0_816:                              ;   in Loop: Header=BB0_634 Depth=2
	s_or_b32 exec_lo, exec_lo, s8
	v_or_b32_e32 v133, v133, v81
	v_mov_b32_e32 v96, v19
	s_mov_b32 s7, 0
	s_mov_b32 s18, exec_lo
                                        ; implicit-def: $sgpr8
	s_delay_alu instid0(VALU_DEP_2) | instskip(NEXT) | instid1(VALU_DEP_1)
	v_and_b32_e32 v135, 0xff, v133
	v_cmpx_lt_i16_e64 0x7f, v135
	s_xor_b32 s18, exec_lo, s18
	s_cbranch_execnz .LBB0_962
; %bb.817:                              ;   in Loop: Header=BB0_634 Depth=2
	s_or_saveexec_b32 s18, s18
	v_mov_b32_e32 v81, s8
	s_xor_b32 exec_lo, exec_lo, s18
	s_cbranch_execnz .LBB0_965
.LBB0_818:                              ;   in Loop: Header=BB0_634 Depth=2
	s_or_b32 exec_lo, exec_lo, s18
	s_and_saveexec_b32 s8, s7
	s_cbranch_execz .LBB0_820
.LBB0_819:                              ;   in Loop: Header=BB0_634 Depth=2
	v_and_b32_e32 v81, 7, v133
	v_bfe_u32 v145, v133, 3, 4
	s_delay_alu instid0(VALU_DEP_2) | instskip(NEXT) | instid1(VALU_DEP_2)
	v_clz_i32_u32_e32 v135, v81
	v_cmp_eq_u32_e32 vcc_lo, 0, v145
	s_delay_alu instid0(VALU_DEP_2) | instskip(NEXT) | instid1(VALU_DEP_1)
	v_min_u32_e32 v135, 32, v135
	v_subrev_nc_u32_e32 v144, 28, v135
	v_sub_nc_u32_e32 v135, 29, v135
	s_delay_alu instid0(VALU_DEP_1) | instskip(NEXT) | instid1(VALU_DEP_1)
	v_dual_cndmask_b32 v135, v145, v135 :: v_dual_lshlrev_b32 v144, v144, v133
	v_and_b32_e32 v144, 7, v144
	v_lshlrev_b32_e32 v146, 24, v133
	s_delay_alu instid0(VALU_DEP_3) | instskip(NEXT) | instid1(VALU_DEP_2)
	v_lshl_add_u32 v135, v135, 23, 0x3b800000
	v_dual_cndmask_b32 v81, v81, v144 :: v_dual_and_b32 v144, 0x80000000, v146
	s_delay_alu instid0(VALU_DEP_1) | instskip(NEXT) | instid1(VALU_DEP_1)
	v_lshlrev_b32_e32 v81, 20, v81
	v_or3_b32 v81, v144, v135, v81
.LBB0_820:                              ;   in Loop: Header=BB0_634 Depth=2
	s_or_b32 exec_lo, exec_lo, s8
	s_delay_alu instid0(VALU_DEP_1) | instskip(NEXT) | instid1(VALU_DEP_1)
	v_add_f32_e32 v134, v134, v81
	v_and_b32_e32 v81, 0x7f800000, v134
	s_delay_alu instid0(VALU_DEP_1)
	v_cmp_ne_u32_e32 vcc_lo, 0x7f800000, v81
	v_mov_b32_e32 v81, 0x80
	s_and_saveexec_b32 s8, vcc_lo
	s_cbranch_execz .LBB0_828
; %bb.821:                              ;   in Loop: Header=BB0_634 Depth=2
	v_mov_b32_e32 v81, 0
	s_mov_b32 s18, exec_lo
	v_cmpx_ne_u32_e32 0, v134
	s_cbranch_execz .LBB0_827
; %bb.822:                              ;   in Loop: Header=BB0_634 Depth=2
	v_bfe_u32 v81, v134, 23, 8
	s_delay_alu instid0(VALU_DEP_1) | instskip(SKIP_1) | instid1(VALU_DEP_2)
	v_sub_nc_u32_e32 v144, 0x78, v81
	v_cmp_gt_u32_e32 vcc_lo, 0x79, v81
	v_dual_cndmask_b32 v144, 0, v144 :: v_dual_and_b32 v135, 0x7fffff, v134
	s_delay_alu instid0(VALU_DEP_1) | instskip(SKIP_2) | instid1(VALU_DEP_4)
	v_or_b32_e32 v145, 0x800000, v135
	v_cmp_eq_u32_e32 vcc_lo, 0, v81
	v_add_nc_u32_e32 v81, 0xffffff89, v81
	v_cndmask_b32_e64 v144, v144, 0x77, vcc_lo
	s_delay_alu instid0(VALU_DEP_2) | instskip(SKIP_1) | instid1(VALU_DEP_3)
	v_cndmask_b32_e64 v81, v81, 0xffffff8a, vcc_lo
	v_cndmask_b32_e32 v135, v145, v135, vcc_lo
	v_lshl_add_u32 v145, 0x100000, v144, -1
	v_lshlrev_b32_e64 v148, v144, 0x80000
	s_delay_alu instid0(VALU_DEP_3) | instskip(SKIP_1) | instid1(VALU_DEP_4)
	v_lshrrev_b32_e32 v146, v144, v135
	v_add_nc_u32_e32 v144, v144, v81
	v_and_b32_e32 v135, v145, v135
	s_delay_alu instid0(VALU_DEP_3) | instskip(NEXT) | instid1(VALU_DEP_2)
	v_bfe_u32 v147, v146, 20, 1
	v_cmp_eq_u32_e64 s7, v135, v148
	s_delay_alu instid0(VALU_DEP_2) | instskip(NEXT) | instid1(VALU_DEP_1)
	v_add_nc_u32_e32 v145, -1, v147
	v_cndmask_b32_e64 v135, 0, v145, s7
	v_lshrrev_b32_e32 v145, 23, v146
	s_mov_b32 s7, exec_lo
	s_delay_alu instid0(VALU_DEP_2) | instskip(NEXT) | instid1(VALU_DEP_2)
	v_add_nc_u32_e32 v135, v135, v146
	v_xor_b32_e32 v145, 1, v145
	s_delay_alu instid0(VALU_DEP_2) | instskip(NEXT) | instid1(VALU_DEP_1)
	v_and_b32_e32 v81, 0xfffff, v135
	v_add_nc_u32_e32 v135, v81, v146
                                        ; implicit-def: $vgpr81
	s_delay_alu instid0(VALU_DEP_3)
	v_cmpx_ne_u32_e64 v144, v145
	s_xor_b32 s7, exec_lo, s7
; %bb.823:                              ;   in Loop: Header=BB0_634 Depth=2
	s_delay_alu instid0(VALU_DEP_2) | instskip(SKIP_2) | instid1(VALU_DEP_2)
	v_cmp_lt_u32_e32 vcc_lo, 0xffffff, v135
	v_sub_nc_u32_e32 v81, v144, v145
	v_cndmask_b32_e64 v144, 0, 1, vcc_lo
	v_add_co_ci_u32_e32 v81, vcc_lo, 0, v81, vcc_lo
	s_delay_alu instid0(VALU_DEP_2)
	v_lshrrev_b32_e32 v135, v144, v135
; %bb.824:                              ;   in Loop: Header=BB0_634 Depth=2
	s_and_not1_saveexec_b32 s7, s7
; %bb.825:                              ;   in Loop: Header=BB0_634 Depth=2
	s_delay_alu instid0(VALU_DEP_1)
	v_bfe_u32 v81, v135, 23, 1
; %bb.826:                              ;   in Loop: Header=BB0_634 Depth=2
	s_or_b32 exec_lo, exec_lo, s7
	v_lshrrev_b32_e32 v135, 20, v135
	s_delay_alu instid0(VALU_DEP_2) | instskip(SKIP_2) | instid1(VALU_DEP_2)
	v_cmp_gt_i32_e32 vcc_lo, 16, v81
	v_lshrrev_b32_e32 v134, 24, v134
	v_min_i32_e32 v144, 15, v81
	v_dual_cndmask_b32 v135, 7, v135 :: v_dual_and_b32 v134, 0x80, v134
	s_delay_alu instid0(VALU_DEP_1) | instskip(SKIP_1) | instid1(VALU_DEP_2)
	v_or_b32_e32 v81, v81, v135
	v_and_b32_e32 v145, 7, v135
	v_cmp_ne_u32_e32 vcc_lo, 0, v81
	v_lshlrev_b32_e32 v144, 3, v144
	s_delay_alu instid0(VALU_DEP_1) | instskip(NEXT) | instid1(VALU_DEP_1)
	v_or3_b32 v134, v144, v134, v145
	v_cndmask_b32_e32 v81, 0, v134, vcc_lo
.LBB0_827:                              ;   in Loop: Header=BB0_634 Depth=2
	s_or_b32 exec_lo, exec_lo, s18
.LBB0_828:                              ;   in Loop: Header=BB0_634 Depth=2
	s_delay_alu instid0(SALU_CYCLE_1) | instskip(SKIP_3) | instid1(VALU_DEP_1)
	s_or_b32 exec_lo, exec_lo, s8
	v_lshrrev_b16 v134, 8, v96
	s_mov_b32 s7, 0
	s_mov_b32 s18, exec_lo
                                        ; implicit-def: $sgpr8
	v_cmpx_lt_i16_e64 0x7f, v134
	s_xor_b32 s18, exec_lo, s18
	s_cbranch_execnz .LBB0_966
; %bb.829:                              ;   in Loop: Header=BB0_634 Depth=2
	s_or_saveexec_b32 s18, s18
	v_mov_b32_e32 v96, s8
	s_xor_b32 exec_lo, exec_lo, s18
	s_cbranch_execnz .LBB0_969
.LBB0_830:                              ;   in Loop: Header=BB0_634 Depth=2
	s_or_b32 exec_lo, exec_lo, s18
	s_and_saveexec_b32 s8, s7
	s_cbranch_execz .LBB0_832
.LBB0_831:                              ;   in Loop: Header=BB0_634 Depth=2
	v_and_b32_e32 v96, 0xffff, v134
	v_lshlrev_b32_e32 v134, 24, v134
	s_delay_alu instid0(VALU_DEP_2) | instskip(NEXT) | instid1(VALU_DEP_2)
	v_and_b32_e32 v135, 7, v96
	v_and_b32_e32 v134, 0x80000000, v134
	s_delay_alu instid0(VALU_DEP_2) | instskip(NEXT) | instid1(VALU_DEP_1)
	v_clz_i32_u32_e32 v144, v135
	v_min_u32_e32 v144, 32, v144
	s_delay_alu instid0(VALU_DEP_1) | instskip(SKIP_1) | instid1(VALU_DEP_2)
	v_subrev_nc_u32_e32 v145, 28, v144
	v_sub_nc_u32_e32 v144, 29, v144
	v_lshlrev_b32_e32 v145, v145, v96
	v_bfe_u32 v96, v96, 3, 4
	s_delay_alu instid0(VALU_DEP_1) | instskip(NEXT) | instid1(VALU_DEP_3)
	v_cmp_eq_u32_e32 vcc_lo, 0, v96
	v_dual_cndmask_b32 v96, v96, v144 :: v_dual_and_b32 v145, 7, v145
	s_delay_alu instid0(VALU_DEP_1) | instskip(NEXT) | instid1(VALU_DEP_2)
	v_cndmask_b32_e32 v135, v135, v145, vcc_lo
	v_lshl_add_u32 v96, v96, 23, 0x3b800000
	s_delay_alu instid0(VALU_DEP_2) | instskip(NEXT) | instid1(VALU_DEP_1)
	v_lshlrev_b32_e32 v135, 20, v135
	v_or3_b32 v96, v134, v96, v135
.LBB0_832:                              ;   in Loop: Header=BB0_634 Depth=2
	s_or_b32 exec_lo, exec_lo, s8
	v_lshrrev_b16 v134, 8, v133
	s_mov_b32 s7, 0
	s_mov_b32 s18, exec_lo
                                        ; implicit-def: $sgpr8
	s_delay_alu instid0(VALU_DEP_1)
	v_cmpx_lt_i16_e64 0x7f, v134
	s_xor_b32 s18, exec_lo, s18
	s_cbranch_execnz .LBB0_970
; %bb.833:                              ;   in Loop: Header=BB0_634 Depth=2
	s_or_saveexec_b32 s18, s18
	v_mov_b32_e32 v135, s8
	s_xor_b32 exec_lo, exec_lo, s18
	s_cbranch_execnz .LBB0_973
.LBB0_834:                              ;   in Loop: Header=BB0_634 Depth=2
	s_or_b32 exec_lo, exec_lo, s18
	s_and_saveexec_b32 s8, s7
	s_cbranch_execz .LBB0_836
.LBB0_835:                              ;   in Loop: Header=BB0_634 Depth=2
	v_and_b32_e32 v135, 0xffff, v134
	v_lshlrev_b32_e32 v134, 24, v134
	s_delay_alu instid0(VALU_DEP_2) | instskip(NEXT) | instid1(VALU_DEP_2)
	v_and_b32_e32 v144, 7, v135
	v_and_b32_e32 v134, 0x80000000, v134
	s_delay_alu instid0(VALU_DEP_2) | instskip(NEXT) | instid1(VALU_DEP_1)
	v_clz_i32_u32_e32 v145, v144
	v_min_u32_e32 v145, 32, v145
	s_delay_alu instid0(VALU_DEP_1) | instskip(SKIP_1) | instid1(VALU_DEP_2)
	v_subrev_nc_u32_e32 v146, 28, v145
	v_sub_nc_u32_e32 v145, 29, v145
	v_lshlrev_b32_e32 v146, v146, v135
	v_bfe_u32 v135, v135, 3, 4
	s_delay_alu instid0(VALU_DEP_2) | instskip(NEXT) | instid1(VALU_DEP_2)
	v_and_b32_e32 v146, 7, v146
	v_cmp_eq_u32_e32 vcc_lo, 0, v135
	s_delay_alu instid0(VALU_DEP_2) | instskip(NEXT) | instid1(VALU_DEP_1)
	v_dual_cndmask_b32 v135, v135, v145 :: v_dual_cndmask_b32 v144, v144, v146
	v_lshl_add_u32 v135, v135, 23, 0x3b800000
	s_delay_alu instid0(VALU_DEP_2) | instskip(NEXT) | instid1(VALU_DEP_1)
	v_lshlrev_b32_e32 v144, 20, v144
	v_or3_b32 v135, v134, v135, v144
.LBB0_836:                              ;   in Loop: Header=BB0_634 Depth=2
	s_or_b32 exec_lo, exec_lo, s8
	s_delay_alu instid0(VALU_DEP_1) | instskip(NEXT) | instid1(VALU_DEP_1)
	v_add_f32_e32 v134, v96, v135
	v_and_b32_e32 v96, 0x7f800000, v134
	s_delay_alu instid0(VALU_DEP_1)
	v_cmp_ne_u32_e32 vcc_lo, 0x7f800000, v96
	v_mov_b32_e32 v96, 0x8000
	s_and_saveexec_b32 s8, vcc_lo
	s_cbranch_execz .LBB0_844
; %bb.837:                              ;   in Loop: Header=BB0_634 Depth=2
	v_mov_b32_e32 v96, 0
	s_mov_b32 s18, exec_lo
	v_cmpx_ne_u32_e32 0, v134
	s_cbranch_execz .LBB0_843
; %bb.838:                              ;   in Loop: Header=BB0_634 Depth=2
	v_bfe_u32 v96, v134, 23, 8
	s_delay_alu instid0(VALU_DEP_1) | instskip(SKIP_1) | instid1(VALU_DEP_2)
	v_sub_nc_u32_e32 v144, 0x78, v96
	v_cmp_gt_u32_e32 vcc_lo, 0x79, v96
	v_dual_cndmask_b32 v144, 0, v144 :: v_dual_and_b32 v135, 0x7fffff, v134
	s_delay_alu instid0(VALU_DEP_1) | instskip(SKIP_2) | instid1(VALU_DEP_4)
	v_or_b32_e32 v145, 0x800000, v135
	v_cmp_eq_u32_e32 vcc_lo, 0, v96
	v_add_nc_u32_e32 v96, 0xffffff89, v96
	v_cndmask_b32_e64 v144, v144, 0x77, vcc_lo
	s_delay_alu instid0(VALU_DEP_4) | instskip(NEXT) | instid1(VALU_DEP_3)
	v_cndmask_b32_e32 v135, v145, v135, vcc_lo
	v_cndmask_b32_e64 v96, v96, 0xffffff8a, vcc_lo
	s_delay_alu instid0(VALU_DEP_3) | instskip(NEXT) | instid1(VALU_DEP_3)
	v_lshl_add_u32 v145, 0x100000, v144, -1
	v_lshrrev_b32_e32 v146, v144, v135
	v_lshlrev_b32_e64 v148, v144, 0x80000
	s_delay_alu instid0(VALU_DEP_4) | instskip(NEXT) | instid1(VALU_DEP_4)
	v_add_nc_u32_e32 v144, v144, v96
	v_and_b32_e32 v135, v145, v135
	s_delay_alu instid0(VALU_DEP_4) | instskip(NEXT) | instid1(VALU_DEP_2)
	v_bfe_u32 v147, v146, 20, 1
	v_cmp_eq_u32_e64 s7, v135, v148
	s_delay_alu instid0(VALU_DEP_2) | instskip(NEXT) | instid1(VALU_DEP_1)
	v_add_nc_u32_e32 v145, -1, v147
	v_cndmask_b32_e64 v135, 0, v145, s7
	v_lshrrev_b32_e32 v145, 23, v146
	s_mov_b32 s7, exec_lo
	s_delay_alu instid0(VALU_DEP_2) | instskip(NEXT) | instid1(VALU_DEP_2)
	v_add_nc_u32_e32 v135, v135, v146
	v_xor_b32_e32 v145, 1, v145
	s_delay_alu instid0(VALU_DEP_2) | instskip(NEXT) | instid1(VALU_DEP_1)
	v_and_b32_e32 v96, 0xfffff, v135
	v_add_nc_u32_e32 v135, v96, v146
                                        ; implicit-def: $vgpr96
	s_delay_alu instid0(VALU_DEP_3)
	v_cmpx_ne_u32_e64 v144, v145
	s_xor_b32 s7, exec_lo, s7
; %bb.839:                              ;   in Loop: Header=BB0_634 Depth=2
	s_delay_alu instid0(VALU_DEP_2) | instskip(SKIP_2) | instid1(VALU_DEP_2)
	v_cmp_lt_u32_e32 vcc_lo, 0xffffff, v135
	v_sub_nc_u32_e32 v96, v144, v145
	v_cndmask_b32_e64 v144, 0, 1, vcc_lo
	v_add_co_ci_u32_e32 v96, vcc_lo, 0, v96, vcc_lo
	s_delay_alu instid0(VALU_DEP_2)
	v_lshrrev_b32_e32 v135, v144, v135
; %bb.840:                              ;   in Loop: Header=BB0_634 Depth=2
	s_and_not1_saveexec_b32 s7, s7
; %bb.841:                              ;   in Loop: Header=BB0_634 Depth=2
	s_delay_alu instid0(VALU_DEP_1)
	v_bfe_u32 v96, v135, 23, 1
; %bb.842:                              ;   in Loop: Header=BB0_634 Depth=2
	s_or_b32 exec_lo, exec_lo, s7
	v_lshrrev_b32_e32 v135, 20, v135
	s_delay_alu instid0(VALU_DEP_2) | instskip(SKIP_2) | instid1(VALU_DEP_2)
	v_cmp_gt_i32_e32 vcc_lo, 16, v96
	v_min_i32_e32 v144, 15, v96
	v_lshrrev_b32_e32 v134, 24, v134
	v_dual_cndmask_b32 v135, 7, v135 :: v_dual_lshlrev_b32 v144, 3, v144
	s_delay_alu instid0(VALU_DEP_2) | instskip(NEXT) | instid1(VALU_DEP_2)
	v_and_b32_e32 v134, 0x80, v134
	v_or_b32_e32 v96, v96, v135
	s_delay_alu instid0(VALU_DEP_3) | instskip(NEXT) | instid1(VALU_DEP_2)
	v_and_b32_e32 v144, 0xf8, v144
	v_cmp_ne_u32_e32 vcc_lo, 0, v96
	v_and_b32_e32 v145, 7, v135
	s_delay_alu instid0(VALU_DEP_1) | instskip(NEXT) | instid1(VALU_DEP_1)
	v_or3_b32 v134, v134, v144, v145
	v_lshlrev_b32_e32 v134, 8, v134
	s_delay_alu instid0(VALU_DEP_1)
	v_cndmask_b32_e32 v96, 0, v134, vcc_lo
.LBB0_843:                              ;   in Loop: Header=BB0_634 Depth=2
	s_or_b32 exec_lo, exec_lo, s18
.LBB0_844:                              ;   in Loop: Header=BB0_634 Depth=2
	s_delay_alu instid0(SALU_CYCLE_1) | instskip(SKIP_3) | instid1(VALU_DEP_1)
	s_or_b32 exec_lo, exec_lo, s8
	v_lshrrev_b32_e32 v135, 16, v19
	s_mov_b32 s7, 0
	s_mov_b32 s18, exec_lo
                                        ; implicit-def: $sgpr8
	v_and_b32_e32 v144, 0xff, v135
	s_delay_alu instid0(VALU_DEP_1)
	v_cmpx_lt_i16_e64 0x7f, v144
	s_xor_b32 s18, exec_lo, s18
	s_cbranch_execnz .LBB0_974
; %bb.845:                              ;   in Loop: Header=BB0_634 Depth=2
	s_or_saveexec_b32 s18, s18
	v_mov_b32_e32 v134, s8
	s_xor_b32 exec_lo, exec_lo, s18
	s_cbranch_execnz .LBB0_977
.LBB0_846:                              ;   in Loop: Header=BB0_634 Depth=2
	s_or_b32 exec_lo, exec_lo, s18
	s_and_saveexec_b32 s8, s7
	s_cbranch_execz .LBB0_848
.LBB0_847:                              ;   in Loop: Header=BB0_634 Depth=2
	v_bfe_u32 v134, v19, 16, 3
	v_lshlrev_b32_e32 v146, 8, v19
	s_delay_alu instid0(VALU_DEP_2) | instskip(NEXT) | instid1(VALU_DEP_1)
	v_clz_i32_u32_e32 v144, v134
	v_min_u32_e32 v144, 32, v144
	s_delay_alu instid0(VALU_DEP_1) | instskip(SKIP_1) | instid1(VALU_DEP_2)
	v_subrev_nc_u32_e32 v145, 28, v144
	v_sub_nc_u32_e32 v144, 29, v144
	v_lshlrev_b32_e32 v135, v145, v135
	v_bfe_u32 v145, v19, 19, 4
	s_delay_alu instid0(VALU_DEP_1) | instskip(NEXT) | instid1(VALU_DEP_3)
	v_cmp_eq_u32_e32 vcc_lo, 0, v145
	v_dual_cndmask_b32 v144, v145, v144 :: v_dual_and_b32 v135, 7, v135
	s_delay_alu instid0(VALU_DEP_1) | instskip(NEXT) | instid1(VALU_DEP_2)
	v_dual_cndmask_b32 v134, v134, v135 :: v_dual_and_b32 v135, 0x80000000, v146
	v_lshl_add_u32 v144, v144, 23, 0x3b800000
	s_delay_alu instid0(VALU_DEP_2) | instskip(NEXT) | instid1(VALU_DEP_1)
	v_lshlrev_b32_e32 v134, 20, v134
	v_or3_b32 v134, v135, v144, v134
.LBB0_848:                              ;   in Loop: Header=BB0_634 Depth=2
	s_or_b32 exec_lo, exec_lo, s8
	v_or_b32_e32 v18, v87, v18
	s_mov_b32 s7, 0
	s_mov_b32 s18, exec_lo
                                        ; implicit-def: $sgpr8
	s_delay_alu instid0(VALU_DEP_1) | instskip(NEXT) | instid1(VALU_DEP_1)
	v_and_b32_e32 v87, 0xff, v18
	v_cmpx_lt_i16_e32 0x7f, v87
	s_xor_b32 s18, exec_lo, s18
	s_cbranch_execnz .LBB0_978
; %bb.849:                              ;   in Loop: Header=BB0_634 Depth=2
	s_or_saveexec_b32 s18, s18
	v_mov_b32_e32 v135, s8
	s_xor_b32 exec_lo, exec_lo, s18
	s_cbranch_execnz .LBB0_981
.LBB0_850:                              ;   in Loop: Header=BB0_634 Depth=2
	s_or_b32 exec_lo, exec_lo, s18
	v_lshl_or_b32 v87, v18, 16, v133
	s_and_saveexec_b32 s8, s7
	s_cbranch_execz .LBB0_852
.LBB0_851:                              ;   in Loop: Header=BB0_634 Depth=2
	s_delay_alu instid0(VALU_DEP_1) | instskip(SKIP_2) | instid1(VALU_DEP_3)
	v_bfe_u32 v18, v87, 16, 3
	v_lshrrev_b32_e32 v135, 16, v87
	v_lshlrev_b32_e32 v145, 8, v87
	v_clz_i32_u32_e32 v133, v18
	s_delay_alu instid0(VALU_DEP_1) | instskip(NEXT) | instid1(VALU_DEP_1)
	v_min_u32_e32 v133, 32, v133
	v_subrev_nc_u32_e32 v144, 28, v133
	v_sub_nc_u32_e32 v133, 29, v133
	s_delay_alu instid0(VALU_DEP_2) | instskip(SKIP_1) | instid1(VALU_DEP_2)
	v_lshlrev_b32_e32 v135, v144, v135
	v_bfe_u32 v144, v87, 19, 4
	v_and_b32_e32 v135, 7, v135
	s_delay_alu instid0(VALU_DEP_2) | instskip(NEXT) | instid1(VALU_DEP_2)
	v_cmp_eq_u32_e32 vcc_lo, 0, v144
	v_dual_cndmask_b32 v133, v144, v133 :: v_dual_cndmask_b32 v18, v18, v135
	v_and_b32_e32 v135, 0x80000000, v145
	s_delay_alu instid0(VALU_DEP_2) | instskip(NEXT) | instid1(VALU_DEP_3)
	v_lshl_add_u32 v133, v133, 23, 0x3b800000
	v_lshlrev_b32_e32 v18, 20, v18
	s_delay_alu instid0(VALU_DEP_1)
	v_or3_b32 v135, v135, v133, v18
.LBB0_852:                              ;   in Loop: Header=BB0_634 Depth=2
	s_or_b32 exec_lo, exec_lo, s8
	s_delay_alu instid0(VALU_DEP_1) | instskip(NEXT) | instid1(VALU_DEP_1)
	v_add_f32_e32 v133, v134, v135
	v_and_b32_e32 v18, 0x7f800000, v133
	s_delay_alu instid0(VALU_DEP_1)
	v_cmp_ne_u32_e32 vcc_lo, 0x7f800000, v18
	v_mov_b32_e32 v18, 0x80
	s_and_saveexec_b32 s8, vcc_lo
	s_cbranch_execz .LBB0_860
; %bb.853:                              ;   in Loop: Header=BB0_634 Depth=2
	v_mov_b32_e32 v18, 0
	s_mov_b32 s18, exec_lo
	v_cmpx_ne_u32_e32 0, v133
	s_cbranch_execz .LBB0_859
; %bb.854:                              ;   in Loop: Header=BB0_634 Depth=2
	v_bfe_u32 v18, v133, 23, 8
	s_delay_alu instid0(VALU_DEP_1) | instskip(SKIP_1) | instid1(VALU_DEP_2)
	v_sub_nc_u32_e32 v135, 0x78, v18
	v_cmp_gt_u32_e32 vcc_lo, 0x79, v18
	v_dual_cndmask_b32 v135, 0, v135 :: v_dual_and_b32 v134, 0x7fffff, v133
	s_delay_alu instid0(VALU_DEP_1) | instskip(SKIP_2) | instid1(VALU_DEP_4)
	v_or_b32_e32 v144, 0x800000, v134
	v_cmp_eq_u32_e32 vcc_lo, 0, v18
	v_add_nc_u32_e32 v18, 0xffffff89, v18
	v_cndmask_b32_e64 v135, v135, 0x77, vcc_lo
	s_delay_alu instid0(VALU_DEP_4) | instskip(NEXT) | instid1(VALU_DEP_3)
	v_cndmask_b32_e32 v134, v144, v134, vcc_lo
	v_cndmask_b32_e64 v18, v18, 0xffffff8a, vcc_lo
	s_delay_alu instid0(VALU_DEP_3) | instskip(NEXT) | instid1(VALU_DEP_3)
	v_lshl_add_u32 v144, 0x100000, v135, -1
	v_lshrrev_b32_e32 v145, v135, v134
	v_lshlrev_b32_e64 v147, v135, 0x80000
	s_delay_alu instid0(VALU_DEP_4) | instskip(NEXT) | instid1(VALU_DEP_4)
	v_add_nc_u32_e32 v135, v135, v18
	v_and_b32_e32 v134, v144, v134
	s_delay_alu instid0(VALU_DEP_4) | instskip(NEXT) | instid1(VALU_DEP_2)
	v_bfe_u32 v146, v145, 20, 1
	v_cmp_eq_u32_e64 s7, v134, v147
	s_delay_alu instid0(VALU_DEP_2) | instskip(NEXT) | instid1(VALU_DEP_1)
	v_add_nc_u32_e32 v144, -1, v146
	v_cndmask_b32_e64 v134, 0, v144, s7
	v_lshrrev_b32_e32 v144, 23, v145
	s_mov_b32 s7, exec_lo
	s_delay_alu instid0(VALU_DEP_2) | instskip(NEXT) | instid1(VALU_DEP_2)
	v_add_nc_u32_e32 v134, v134, v145
	v_xor_b32_e32 v144, 1, v144
	s_delay_alu instid0(VALU_DEP_2) | instskip(NEXT) | instid1(VALU_DEP_1)
	v_and_b32_e32 v18, 0xfffff, v134
	v_add_nc_u32_e32 v134, v18, v145
                                        ; implicit-def: $vgpr18
	s_delay_alu instid0(VALU_DEP_3)
	v_cmpx_ne_u32_e64 v135, v144
	s_xor_b32 s7, exec_lo, s7
; %bb.855:                              ;   in Loop: Header=BB0_634 Depth=2
	s_delay_alu instid0(VALU_DEP_2) | instskip(SKIP_2) | instid1(VALU_DEP_2)
	v_cmp_lt_u32_e32 vcc_lo, 0xffffff, v134
	v_sub_nc_u32_e32 v18, v135, v144
	v_cndmask_b32_e64 v135, 0, 1, vcc_lo
	v_add_co_ci_u32_e32 v18, vcc_lo, 0, v18, vcc_lo
	s_delay_alu instid0(VALU_DEP_2)
	v_lshrrev_b32_e32 v134, v135, v134
; %bb.856:                              ;   in Loop: Header=BB0_634 Depth=2
	s_and_not1_saveexec_b32 s7, s7
; %bb.857:                              ;   in Loop: Header=BB0_634 Depth=2
	s_delay_alu instid0(VALU_DEP_1)
	v_bfe_u32 v18, v134, 23, 1
; %bb.858:                              ;   in Loop: Header=BB0_634 Depth=2
	s_or_b32 exec_lo, exec_lo, s7
	v_lshrrev_b32_e32 v134, 20, v134
	s_delay_alu instid0(VALU_DEP_2) | instskip(SKIP_2) | instid1(VALU_DEP_2)
	v_cmp_gt_i32_e32 vcc_lo, 16, v18
	v_min_i32_e32 v135, 15, v18
	v_lshrrev_b32_e32 v133, 24, v133
	v_dual_cndmask_b32 v134, 7, v134 :: v_dual_lshlrev_b32 v135, 3, v135
	s_delay_alu instid0(VALU_DEP_2) | instskip(NEXT) | instid1(VALU_DEP_2)
	v_and_b32_e32 v133, 0x80, v133
	v_or_b32_e32 v18, v18, v134
	v_and_b32_e32 v144, 7, v134
	s_delay_alu instid0(VALU_DEP_2) | instskip(SKIP_1) | instid1(VALU_DEP_1)
	v_cmp_ne_u32_e32 vcc_lo, 0, v18
	v_and_b32_e32 v135, 0xf8, v135
	v_or3_b32 v133, v135, v133, v144
	s_delay_alu instid0(VALU_DEP_1)
	v_cndmask_b32_e32 v18, 0, v133, vcc_lo
.LBB0_859:                              ;   in Loop: Header=BB0_634 Depth=2
	s_or_b32 exec_lo, exec_lo, s18
.LBB0_860:                              ;   in Loop: Header=BB0_634 Depth=2
	s_delay_alu instid0(SALU_CYCLE_1) | instskip(SKIP_3) | instid1(VALU_DEP_1)
	s_or_b32 exec_lo, exec_lo, s8
	v_lshrrev_b32_e32 v134, 24, v19
	s_mov_b32 s7, 0
	s_mov_b32 s18, exec_lo
                                        ; implicit-def: $sgpr8
	v_cmpx_lt_i16_e64 0x7f, v134
	s_xor_b32 s18, exec_lo, s18
	s_cbranch_execnz .LBB0_982
; %bb.861:                              ;   in Loop: Header=BB0_634 Depth=2
	s_or_saveexec_b32 s18, s18
	v_mov_b32_e32 v133, s8
	s_xor_b32 exec_lo, exec_lo, s18
	s_cbranch_execnz .LBB0_985
.LBB0_862:                              ;   in Loop: Header=BB0_634 Depth=2
	s_or_b32 exec_lo, exec_lo, s18
	s_and_saveexec_b32 s8, s7
	s_cbranch_execz .LBB0_864
.LBB0_863:                              ;   in Loop: Header=BB0_634 Depth=2
	v_bfe_u32 v133, v19, 24, 3
	s_delay_alu instid0(VALU_DEP_1) | instskip(NEXT) | instid1(VALU_DEP_1)
	v_clz_i32_u32_e32 v135, v133
	v_min_u32_e32 v135, 32, v135
	s_delay_alu instid0(VALU_DEP_1) | instskip(SKIP_1) | instid1(VALU_DEP_2)
	v_subrev_nc_u32_e32 v144, 28, v135
	v_sub_nc_u32_e32 v135, 29, v135
	v_lshlrev_b32_e32 v134, v144, v134
	v_bfe_u32 v144, v19, 27, 4
	v_and_b32_e32 v19, 0x80000000, v19
	s_delay_alu instid0(VALU_DEP_2) | instskip(NEXT) | instid1(VALU_DEP_4)
	v_cmp_eq_u32_e32 vcc_lo, 0, v144
	v_dual_cndmask_b32 v135, v144, v135 :: v_dual_and_b32 v134, 7, v134
	s_delay_alu instid0(VALU_DEP_1) | instskip(NEXT) | instid1(VALU_DEP_2)
	v_cndmask_b32_e32 v133, v133, v134, vcc_lo
	v_lshl_add_u32 v134, v135, 23, 0x3b800000
	s_delay_alu instid0(VALU_DEP_2) | instskip(NEXT) | instid1(VALU_DEP_1)
	v_lshlrev_b32_e32 v133, 20, v133
	v_or3_b32 v133, v19, v134, v133
.LBB0_864:                              ;   in Loop: Header=BB0_634 Depth=2
	s_or_b32 exec_lo, exec_lo, s8
	v_lshrrev_b32_e32 v19, 24, v87
	s_mov_b32 s7, 0
	s_mov_b32 s18, exec_lo
                                        ; implicit-def: $sgpr8
	s_delay_alu instid0(VALU_DEP_1)
	v_cmpx_lt_i16_e32 0x7f, v19
	s_xor_b32 s18, exec_lo, s18
	s_cbranch_execnz .LBB0_986
; %bb.865:                              ;   in Loop: Header=BB0_634 Depth=2
	s_or_saveexec_b32 s18, s18
	v_mov_b32_e32 v134, s8
	s_xor_b32 exec_lo, exec_lo, s18
	s_cbranch_execnz .LBB0_989
.LBB0_866:                              ;   in Loop: Header=BB0_634 Depth=2
	s_or_b32 exec_lo, exec_lo, s18
	s_and_saveexec_b32 s8, s7
	s_cbranch_execz .LBB0_868
.LBB0_867:                              ;   in Loop: Header=BB0_634 Depth=2
	v_bfe_u32 v134, v87, 24, 3
	s_delay_alu instid0(VALU_DEP_1) | instskip(NEXT) | instid1(VALU_DEP_1)
	v_clz_i32_u32_e32 v135, v134
	v_min_u32_e32 v135, 32, v135
	s_delay_alu instid0(VALU_DEP_1) | instskip(SKIP_1) | instid1(VALU_DEP_2)
	v_subrev_nc_u32_e32 v144, 28, v135
	v_sub_nc_u32_e32 v135, 29, v135
	v_lshlrev_b32_e32 v19, v144, v19
	v_bfe_u32 v144, v87, 27, 4
	v_and_b32_e32 v87, 0x80000000, v87
	s_delay_alu instid0(VALU_DEP_3) | instskip(NEXT) | instid1(VALU_DEP_3)
	v_and_b32_e32 v19, 7, v19
	v_cmp_eq_u32_e32 vcc_lo, 0, v144
	v_cndmask_b32_e32 v135, v144, v135, vcc_lo
	s_delay_alu instid0(VALU_DEP_3) | instskip(NEXT) | instid1(VALU_DEP_2)
	v_cndmask_b32_e32 v19, v134, v19, vcc_lo
	v_lshl_add_u32 v134, v135, 23, 0x3b800000
	s_delay_alu instid0(VALU_DEP_2) | instskip(NEXT) | instid1(VALU_DEP_1)
	v_lshlrev_b32_e32 v19, 20, v19
	v_or3_b32 v134, v87, v134, v19
.LBB0_868:                              ;   in Loop: Header=BB0_634 Depth=2
	s_or_b32 exec_lo, exec_lo, s8
	s_delay_alu instid0(VALU_DEP_1) | instskip(NEXT) | instid1(VALU_DEP_1)
	v_add_f32_e32 v19, v133, v134
	v_and_b32_e32 v87, 0x7f800000, v19
	s_delay_alu instid0(VALU_DEP_1)
	v_cmp_ne_u32_e32 vcc_lo, 0x7f800000, v87
	v_mov_b32_e32 v87, 0x8000
	s_and_saveexec_b32 s8, vcc_lo
	s_cbranch_execz .LBB0_876
; %bb.869:                              ;   in Loop: Header=BB0_634 Depth=2
	v_mov_b32_e32 v87, 0
	s_mov_b32 s18, exec_lo
	v_cmpx_ne_u32_e32 0, v19
	s_cbranch_execz .LBB0_875
; %bb.870:                              ;   in Loop: Header=BB0_634 Depth=2
	v_bfe_u32 v87, v19, 23, 8
	s_delay_alu instid0(VALU_DEP_1) | instskip(SKIP_1) | instid1(VALU_DEP_2)
	v_sub_nc_u32_e32 v134, 0x78, v87
	v_cmp_gt_u32_e32 vcc_lo, 0x79, v87
	v_dual_cndmask_b32 v134, 0, v134 :: v_dual_and_b32 v133, 0x7fffff, v19
	s_delay_alu instid0(VALU_DEP_1) | instskip(SKIP_2) | instid1(VALU_DEP_4)
	v_or_b32_e32 v135, 0x800000, v133
	v_cmp_eq_u32_e32 vcc_lo, 0, v87
	v_add_nc_u32_e32 v87, 0xffffff89, v87
	v_cndmask_b32_e64 v134, v134, 0x77, vcc_lo
	s_delay_alu instid0(VALU_DEP_2) | instskip(SKIP_1) | instid1(VALU_DEP_3)
	v_cndmask_b32_e64 v87, v87, 0xffffff8a, vcc_lo
	v_cndmask_b32_e32 v133, v135, v133, vcc_lo
	v_lshl_add_u32 v135, 0x100000, v134, -1
	v_lshlrev_b32_e64 v146, v134, 0x80000
	s_delay_alu instid0(VALU_DEP_3) | instskip(SKIP_1) | instid1(VALU_DEP_4)
	v_lshrrev_b32_e32 v144, v134, v133
	v_add_nc_u32_e32 v134, v134, v87
	v_and_b32_e32 v133, v135, v133
	s_delay_alu instid0(VALU_DEP_3) | instskip(NEXT) | instid1(VALU_DEP_2)
	v_bfe_u32 v145, v144, 20, 1
	v_cmp_eq_u32_e64 s7, v133, v146
	s_delay_alu instid0(VALU_DEP_2) | instskip(NEXT) | instid1(VALU_DEP_1)
	v_add_nc_u32_e32 v135, -1, v145
	v_cndmask_b32_e64 v133, 0, v135, s7
	v_lshrrev_b32_e32 v135, 23, v144
	s_mov_b32 s7, exec_lo
	s_delay_alu instid0(VALU_DEP_2) | instskip(NEXT) | instid1(VALU_DEP_2)
	v_add_nc_u32_e32 v133, v133, v144
	v_xor_b32_e32 v135, 1, v135
	s_delay_alu instid0(VALU_DEP_2) | instskip(NEXT) | instid1(VALU_DEP_1)
	v_and_b32_e32 v87, 0xfffff, v133
	v_add_nc_u32_e32 v133, v87, v144
                                        ; implicit-def: $vgpr87
	s_delay_alu instid0(VALU_DEP_3)
	v_cmpx_ne_u32_e64 v134, v135
	s_xor_b32 s7, exec_lo, s7
; %bb.871:                              ;   in Loop: Header=BB0_634 Depth=2
	s_delay_alu instid0(VALU_DEP_2) | instskip(SKIP_2) | instid1(VALU_DEP_2)
	v_cmp_lt_u32_e32 vcc_lo, 0xffffff, v133
	v_sub_nc_u32_e32 v87, v134, v135
	v_cndmask_b32_e64 v134, 0, 1, vcc_lo
	v_add_co_ci_u32_e32 v87, vcc_lo, 0, v87, vcc_lo
	s_delay_alu instid0(VALU_DEP_2)
	v_lshrrev_b32_e32 v133, v134, v133
; %bb.872:                              ;   in Loop: Header=BB0_634 Depth=2
	s_and_not1_saveexec_b32 s7, s7
; %bb.873:                              ;   in Loop: Header=BB0_634 Depth=2
	s_delay_alu instid0(VALU_DEP_1)
	v_bfe_u32 v87, v133, 23, 1
; %bb.874:                              ;   in Loop: Header=BB0_634 Depth=2
	s_or_b32 exec_lo, exec_lo, s7
	v_lshrrev_b32_e32 v133, 20, v133
	s_delay_alu instid0(VALU_DEP_2) | instskip(SKIP_2) | instid1(VALU_DEP_2)
	v_cmp_gt_i32_e32 vcc_lo, 16, v87
	v_min_i32_e32 v134, 15, v87
	v_lshrrev_b32_e32 v19, 24, v19
	v_dual_cndmask_b32 v133, 7, v133 :: v_dual_lshlrev_b32 v134, 3, v134
	s_delay_alu instid0(VALU_DEP_2) | instskip(NEXT) | instid1(VALU_DEP_2)
	v_and_b32_e32 v19, 0x80, v19
	v_or_b32_e32 v87, v87, v133
	v_and_b32_e32 v135, 7, v133
	s_delay_alu instid0(VALU_DEP_2) | instskip(SKIP_1) | instid1(VALU_DEP_1)
	v_cmp_ne_u32_e32 vcc_lo, 0, v87
	v_and_b32_e32 v134, 0xf8, v134
	v_or3_b32 v19, v19, v134, v135
	s_delay_alu instid0(VALU_DEP_1) | instskip(NEXT) | instid1(VALU_DEP_1)
	v_lshlrev_b32_e32 v19, 8, v19
	v_cndmask_b32_e32 v87, 0, v19, vcc_lo
.LBB0_875:                              ;   in Loop: Header=BB0_634 Depth=2
	s_or_b32 exec_lo, exec_lo, s18
.LBB0_876:                              ;   in Loop: Header=BB0_634 Depth=2
	s_delay_alu instid0(SALU_CYCLE_1)
	s_or_b32 exec_lo, exec_lo, s8
	v_cmp_lt_u32_e32 vcc_lo, 7, v132
	v_and_or_b32 v19, 0xff, v81, v96
	v_or_b32_e32 v18, v87, v18
	v_cndmask_b32_e64 v133, 0, 1, vcc_lo
	;;#ASMSTART
	;;#ASMEND
	s_delay_alu instid0(VALU_DEP_1) | instskip(NEXT) | instid1(VALU_DEP_3)
	v_cmp_ne_u32_e64 s7, 0, v133
	v_lshl_or_b32 v18, v18, 16, v19
	s_delay_alu instid0(VALU_DEP_2)
	s_cmp_lg_u32 s7, exec_lo
	s_mov_b32 s7, -1
	s_cbranch_scc0 .LBB0_892
; %bb.877:                              ;   in Loop: Header=BB0_634 Depth=2
	s_mov_b32 s8, exec_lo
	flat_store_b8 v[70:71], v20
	v_cmpx_ne_u32_e32 1, v132
	s_cbranch_execz .LBB0_879
; %bb.878:                              ;   in Loop: Header=BB0_634 Depth=2
	flat_store_b8 v[70:71], v82 offset:1
.LBB0_879:                              ;   in Loop: Header=BB0_634 Depth=2
	s_or_b32 exec_lo, exec_lo, s8
	s_delay_alu instid0(SALU_CYCLE_1)
	s_mov_b32 s8, exec_lo
	v_cmpx_lt_u32_e32 2, v132
	s_cbranch_execz .LBB0_881
; %bb.880:                              ;   in Loop: Header=BB0_634 Depth=2
	flat_store_b8 v[70:71], v97 offset:2
.LBB0_881:                              ;   in Loop: Header=BB0_634 Depth=2
	s_or_b32 exec_lo, exec_lo, s8
	s_delay_alu instid0(SALU_CYCLE_1)
	s_mov_b32 s8, exec_lo
	v_cmpx_lt_u32_e32 3, v132
	;; [unrolled: 8-line block ×4, first 2 shown]
	s_cbranch_execz .LBB0_887
; %bb.886:                              ;   in Loop: Header=BB0_634 Depth=2
	v_lshrrev_b32_e32 v19, 8, v96
	flat_store_b8 v[70:71], v19 offset:5
.LBB0_887:                              ;   in Loop: Header=BB0_634 Depth=2
	s_or_b32 exec_lo, exec_lo, s8
	s_delay_alu instid0(SALU_CYCLE_1)
	s_mov_b32 s8, exec_lo
	v_cmpx_lt_u32_e32 6, v132
	s_cbranch_execz .LBB0_889
; %bb.888:                              ;   in Loop: Header=BB0_634 Depth=2
	flat_store_d16_hi_b8 v[70:71], v18 offset:6
.LBB0_889:                              ;   in Loop: Header=BB0_634 Depth=2
	s_or_b32 exec_lo, exec_lo, s8
	s_and_saveexec_b32 s7, vcc_lo
	s_cbranch_execz .LBB0_891
; %bb.890:                              ;   in Loop: Header=BB0_634 Depth=2
	v_lshrrev_b32_e32 v19, 24, v18
	flat_store_b8 v[70:71], v19 offset:7
.LBB0_891:                              ;   in Loop: Header=BB0_634 Depth=2
	s_or_b32 exec_lo, exec_lo, s7
	s_mov_b32 s7, 0
.LBB0_892:                              ;   in Loop: Header=BB0_634 Depth=2
	s_delay_alu instid0(SALU_CYCLE_1)
	s_and_b32 vcc_lo, exec_lo, s7
	s_cbranch_vccz .LBB0_633
; %bb.893:                              ;   in Loop: Header=BB0_634 Depth=2
	v_perm_b32 v17, v17, v97, 0x6050400
	v_lshlrev_b32_e32 v19, 8, v82
	s_delay_alu instid0(VALU_DEP_2) | instskip(NEXT) | instid1(VALU_DEP_1)
	v_perm_b32 v17, v17, v20, 0x5040c00
	v_and_or_b32 v17, 0xff00, v19, v17
	global_store_b64 v[70:71], v[17:18], off
	s_branch .LBB0_633
.LBB0_894:                              ;   in Loop: Header=BB0_634 Depth=2
	s_mov_b32 s7, -1
	s_mov_b32 s19, exec_lo
                                        ; implicit-def: $sgpr8
	v_cmpx_eq_u16_e32 0x80, v82
; %bb.895:                              ;   in Loop: Header=BB0_634 Depth=2
	s_mov_b32 s8, 0x7f800001
	s_xor_b32 s7, exec_lo, -1
; %bb.896:                              ;   in Loop: Header=BB0_634 Depth=2
	s_or_b32 exec_lo, exec_lo, s19
	s_delay_alu instid0(SALU_CYCLE_1)
	s_and_b32 s7, s7, exec_lo
                                        ; implicit-def: $vgpr82
	s_or_saveexec_b32 s18, s18
	v_mov_b32_e32 v20, s8
	s_xor_b32 exec_lo, exec_lo, s18
	s_cbranch_execz .LBB0_654
.LBB0_897:                              ;   in Loop: Header=BB0_634 Depth=2
	v_cmp_ne_u16_e32 vcc_lo, 0, v82
	v_mov_b32_e32 v20, 0
	s_and_not1_b32 s7, s7, exec_lo
	s_and_b32 s8, vcc_lo, exec_lo
	s_delay_alu instid0(SALU_CYCLE_1)
	s_or_b32 s7, s7, s8
	s_or_b32 exec_lo, exec_lo, s18
	s_and_saveexec_b32 s8, s7
	s_cbranch_execnz .LBB0_655
	s_branch .LBB0_656
.LBB0_898:                              ;   in Loop: Header=BB0_634 Depth=2
	s_mov_b32 s7, -1
	s_mov_b32 s19, exec_lo
                                        ; implicit-def: $sgpr8
	v_cmpx_eq_u16_e32 0x80, v82
; %bb.899:                              ;   in Loop: Header=BB0_634 Depth=2
	s_mov_b32 s8, 0x7f800001
	s_xor_b32 s7, exec_lo, -1
; %bb.900:                              ;   in Loop: Header=BB0_634 Depth=2
	s_or_b32 exec_lo, exec_lo, s19
	s_delay_alu instid0(SALU_CYCLE_1)
	s_and_b32 s7, s7, exec_lo
	s_or_saveexec_b32 s18, s18
	v_mov_b32_e32 v96, s8
	s_xor_b32 exec_lo, exec_lo, s18
	s_cbranch_execz .LBB0_666
.LBB0_901:                              ;   in Loop: Header=BB0_634 Depth=2
	v_cmp_ne_u16_e32 vcc_lo, 0, v82
	v_mov_b32_e32 v96, 0
	s_and_not1_b32 s7, s7, exec_lo
	s_and_b32 s8, vcc_lo, exec_lo
	s_delay_alu instid0(SALU_CYCLE_1)
	s_or_b32 s7, s7, s8
	s_or_b32 exec_lo, exec_lo, s18
	s_and_saveexec_b32 s8, s7
	s_cbranch_execnz .LBB0_667
	s_branch .LBB0_668
.LBB0_902:                              ;   in Loop: Header=BB0_634 Depth=2
	s_mov_b32 s7, -1
	s_mov_b32 s19, exec_lo
                                        ; implicit-def: $sgpr8
	v_cmpx_eq_u16_e64 0x80, v134
; %bb.903:                              ;   in Loop: Header=BB0_634 Depth=2
	s_mov_b32 s8, 0x7f800001
	s_xor_b32 s7, exec_lo, -1
; %bb.904:                              ;   in Loop: Header=BB0_634 Depth=2
	s_or_b32 exec_lo, exec_lo, s19
	s_delay_alu instid0(SALU_CYCLE_1)
	s_and_b32 s7, s7, exec_lo
                                        ; implicit-def: $vgpr134
	s_or_saveexec_b32 s18, s18
	v_mov_b32_e32 v97, s8
	s_xor_b32 exec_lo, exec_lo, s18
	s_cbranch_execz .LBB0_678
.LBB0_905:                              ;   in Loop: Header=BB0_634 Depth=2
	v_cmp_ne_u16_e64 vcc_lo, 0, v134
	v_mov_b32_e32 v97, 0
	s_and_not1_b32 s7, s7, exec_lo
	s_delay_alu instid0(VALU_DEP_2) | instskip(NEXT) | instid1(SALU_CYCLE_1)
	s_and_b32 s8, vcc_lo, exec_lo
	s_or_b32 s7, s7, s8
	s_or_b32 exec_lo, exec_lo, s18
	s_and_saveexec_b32 s8, s7
	s_cbranch_execnz .LBB0_679
	s_branch .LBB0_680
.LBB0_906:                              ;   in Loop: Header=BB0_634 Depth=2
	s_mov_b32 s7, -1
	s_mov_b32 s19, exec_lo
                                        ; implicit-def: $sgpr8
	v_cmpx_eq_u16_e32 0x80, v96
; %bb.907:                              ;   in Loop: Header=BB0_634 Depth=2
	s_mov_b32 s8, 0x7f800001
	s_xor_b32 s7, exec_lo, -1
; %bb.908:                              ;   in Loop: Header=BB0_634 Depth=2
	s_or_b32 exec_lo, exec_lo, s19
	s_delay_alu instid0(SALU_CYCLE_1)
	s_and_b32 s7, s7, exec_lo
	s_or_saveexec_b32 s18, s18
	v_mov_b32_e32 v134, s8
	s_xor_b32 exec_lo, exec_lo, s18
	s_cbranch_execz .LBB0_690
.LBB0_909:                              ;   in Loop: Header=BB0_634 Depth=2
	v_cmp_ne_u16_e32 vcc_lo, 0, v96
	v_mov_b32_e32 v134, 0
	s_and_not1_b32 s7, s7, exec_lo
	s_and_b32 s8, vcc_lo, exec_lo
	s_delay_alu instid0(SALU_CYCLE_1)
	s_or_b32 s7, s7, s8
	s_or_b32 exec_lo, exec_lo, s18
	s_and_saveexec_b32 s8, s7
	s_cbranch_execnz .LBB0_691
	s_branch .LBB0_692
.LBB0_910:                              ;   in Loop: Header=BB0_634 Depth=2
	s_mov_b32 s7, -1
	s_mov_b32 s19, exec_lo
                                        ; implicit-def: $sgpr8
	v_cmpx_eq_u16_e32 0x80, v81
; %bb.911:                              ;   in Loop: Header=BB0_634 Depth=2
	s_mov_b32 s8, 0x7f800001
	s_xor_b32 s7, exec_lo, -1
; %bb.912:                              ;   in Loop: Header=BB0_634 Depth=2
	s_or_b32 exec_lo, exec_lo, s19
	s_delay_alu instid0(SALU_CYCLE_1)
	s_and_b32 s7, s7, exec_lo
                                        ; implicit-def: $vgpr81
	s_or_saveexec_b32 s18, s18
	v_mov_b32_e32 v18, s8
	s_xor_b32 exec_lo, exec_lo, s18
	s_cbranch_execz .LBB0_702
.LBB0_913:                              ;   in Loop: Header=BB0_634 Depth=2
	v_cmp_ne_u16_e32 vcc_lo, 0, v81
	v_mov_b32_e32 v18, 0
	s_and_not1_b32 s7, s7, exec_lo
	s_and_b32 s8, vcc_lo, exec_lo
	s_delay_alu instid0(SALU_CYCLE_1)
	s_or_b32 s7, s7, s8
	s_or_b32 exec_lo, exec_lo, s18
	s_and_saveexec_b32 s8, s7
	s_cbranch_execnz .LBB0_703
	s_branch .LBB0_704
.LBB0_914:                              ;   in Loop: Header=BB0_634 Depth=2
	s_mov_b32 s7, -1
	s_mov_b32 s19, exec_lo
                                        ; implicit-def: $sgpr8
	v_cmpx_eq_u16_e32 0x80, v18
; %bb.915:                              ;   in Loop: Header=BB0_634 Depth=2
	s_mov_b32 s8, 0x7f800001
	s_xor_b32 s7, exec_lo, -1
; %bb.916:                              ;   in Loop: Header=BB0_634 Depth=2
	s_or_b32 exec_lo, exec_lo, s19
	s_delay_alu instid0(SALU_CYCLE_1)
	s_and_b32 s7, s7, exec_lo
	s_or_saveexec_b32 s18, s18
	v_mov_b32_e32 v133, s8
	s_xor_b32 exec_lo, exec_lo, s18
	s_cbranch_execz .LBB0_714
.LBB0_917:                              ;   in Loop: Header=BB0_634 Depth=2
	v_cmp_ne_u16_e32 vcc_lo, 0, v18
	v_mov_b32_e32 v133, 0
	s_and_not1_b32 s7, s7, exec_lo
	s_and_b32 s8, vcc_lo, exec_lo
	s_delay_alu instid0(SALU_CYCLE_1)
	s_or_b32 s7, s7, s8
	s_or_b32 exec_lo, exec_lo, s18
	s_and_saveexec_b32 s8, s7
	s_cbranch_execnz .LBB0_715
	s_branch .LBB0_716
.LBB0_918:                              ;   in Loop: Header=BB0_634 Depth=2
	s_mov_b32 s7, -1
	s_mov_b32 s19, exec_lo
                                        ; implicit-def: $sgpr8
	v_cmpx_eq_u16_e64 0x80, v135
; %bb.919:                              ;   in Loop: Header=BB0_634 Depth=2
	s_mov_b32 s8, 0x7f800001
	s_xor_b32 s7, exec_lo, -1
; %bb.920:                              ;   in Loop: Header=BB0_634 Depth=2
	s_or_b32 exec_lo, exec_lo, s19
	s_delay_alu instid0(SALU_CYCLE_1)
	s_and_b32 s7, s7, exec_lo
                                        ; implicit-def: $vgpr135
	s_or_saveexec_b32 s18, s18
	v_mov_b32_e32 v134, s8
	s_xor_b32 exec_lo, exec_lo, s18
	s_cbranch_execz .LBB0_726
.LBB0_921:                              ;   in Loop: Header=BB0_634 Depth=2
	v_cmp_ne_u16_e64 vcc_lo, 0, v135
	v_mov_b32_e32 v134, 0
	s_and_not1_b32 s7, s7, exec_lo
	s_delay_alu instid0(VALU_DEP_2) | instskip(NEXT) | instid1(SALU_CYCLE_1)
	s_and_b32 s8, vcc_lo, exec_lo
	s_or_b32 s7, s7, s8
	s_or_b32 exec_lo, exec_lo, s18
	s_and_saveexec_b32 s8, s7
	s_cbranch_execnz .LBB0_727
	s_branch .LBB0_728
.LBB0_922:                              ;   in Loop: Header=BB0_634 Depth=2
	s_mov_b32 s7, -1
	s_mov_b32 s19, exec_lo
                                        ; implicit-def: $sgpr8
	v_cmpx_eq_u16_e64 0x80, v134
; %bb.923:                              ;   in Loop: Header=BB0_634 Depth=2
	s_mov_b32 s8, 0x7f800001
	s_xor_b32 s7, exec_lo, -1
; %bb.924:                              ;   in Loop: Header=BB0_634 Depth=2
	s_or_b32 exec_lo, exec_lo, s19
	s_delay_alu instid0(SALU_CYCLE_1)
	s_and_b32 s7, s7, exec_lo
	s_or_saveexec_b32 s18, s18
	v_mov_b32_e32 v135, s8
	s_xor_b32 exec_lo, exec_lo, s18
	s_cbranch_execz .LBB0_738
.LBB0_925:                              ;   in Loop: Header=BB0_634 Depth=2
	v_cmp_ne_u16_e64 vcc_lo, 0, v134
	v_mov_b32_e32 v135, 0
	s_and_not1_b32 s7, s7, exec_lo
	s_delay_alu instid0(VALU_DEP_2) | instskip(NEXT) | instid1(SALU_CYCLE_1)
	s_and_b32 s8, vcc_lo, exec_lo
	s_or_b32 s7, s7, s8
	s_or_b32 exec_lo, exec_lo, s18
	s_and_saveexec_b32 s8, s7
	s_cbranch_execnz .LBB0_739
	s_branch .LBB0_740
.LBB0_926:                              ;   in Loop: Header=BB0_634 Depth=2
	s_mov_b32 s7, -1
	s_mov_b32 s19, exec_lo
                                        ; implicit-def: $sgpr8
	v_cmpx_eq_u16_e64 0x80, v135
; %bb.927:                              ;   in Loop: Header=BB0_634 Depth=2
	s_mov_b32 s8, 0x7f800001
	s_xor_b32 s7, exec_lo, -1
; %bb.928:                              ;   in Loop: Header=BB0_634 Depth=2
	s_or_b32 exec_lo, exec_lo, s19
	s_delay_alu instid0(SALU_CYCLE_1)
	s_and_b32 s7, s7, exec_lo
                                        ; implicit-def: $vgpr135
	s_or_saveexec_b32 s18, s18
	v_mov_b32_e32 v134, s8
	s_xor_b32 exec_lo, exec_lo, s18
	s_cbranch_execz .LBB0_750
.LBB0_929:                              ;   in Loop: Header=BB0_634 Depth=2
	v_cmp_ne_u16_e64 vcc_lo, 0, v135
	v_mov_b32_e32 v134, 0
	s_and_not1_b32 s7, s7, exec_lo
	s_delay_alu instid0(VALU_DEP_2) | instskip(NEXT) | instid1(SALU_CYCLE_1)
	s_and_b32 s8, vcc_lo, exec_lo
	s_or_b32 s7, s7, s8
	s_or_b32 exec_lo, exec_lo, s18
	s_and_saveexec_b32 s8, s7
	s_cbranch_execnz .LBB0_751
	s_branch .LBB0_752
.LBB0_930:                              ;   in Loop: Header=BB0_634 Depth=2
	s_mov_b32 s7, -1
	s_mov_b32 s19, exec_lo
                                        ; implicit-def: $sgpr8
	v_cmpx_eq_u16_e64 0x80, v144
; %bb.931:                              ;   in Loop: Header=BB0_634 Depth=2
	s_mov_b32 s8, 0x7f800001
	s_xor_b32 s7, exec_lo, -1
; %bb.932:                              ;   in Loop: Header=BB0_634 Depth=2
	s_or_b32 exec_lo, exec_lo, s19
	s_delay_alu instid0(SALU_CYCLE_1)
	s_and_b32 s7, s7, exec_lo
                                        ; implicit-def: $vgpr144
	s_or_saveexec_b32 s18, s18
	v_mov_b32_e32 v135, s8
	s_xor_b32 exec_lo, exec_lo, s18
	s_cbranch_execz .LBB0_754
.LBB0_933:                              ;   in Loop: Header=BB0_634 Depth=2
	v_cmp_ne_u16_e64 vcc_lo, 0, v144
	v_mov_b32_e32 v135, 0
	s_and_not1_b32 s7, s7, exec_lo
	s_delay_alu instid0(VALU_DEP_2) | instskip(NEXT) | instid1(SALU_CYCLE_1)
	s_and_b32 s8, vcc_lo, exec_lo
	s_or_b32 s7, s7, s8
	s_or_b32 exec_lo, exec_lo, s18
	s_and_saveexec_b32 s8, s7
	s_cbranch_execnz .LBB0_755
	s_branch .LBB0_756
.LBB0_934:                              ;   in Loop: Header=BB0_634 Depth=2
	s_mov_b32 s7, -1
	s_mov_b32 s19, exec_lo
                                        ; implicit-def: $sgpr8
	v_cmpx_eq_u16_e64 0x80, v135
; %bb.935:                              ;   in Loop: Header=BB0_634 Depth=2
	s_mov_b32 s8, 0x7f800001
	s_xor_b32 s7, exec_lo, -1
; %bb.936:                              ;   in Loop: Header=BB0_634 Depth=2
	s_or_b32 exec_lo, exec_lo, s19
	s_delay_alu instid0(SALU_CYCLE_1)
	s_and_b32 s7, s7, exec_lo
	s_or_saveexec_b32 s18, s18
	v_mov_b32_e32 v134, s8
	s_xor_b32 exec_lo, exec_lo, s18
	s_cbranch_execz .LBB0_766
.LBB0_937:                              ;   in Loop: Header=BB0_634 Depth=2
	v_cmp_ne_u16_e64 vcc_lo, 0, v135
	v_mov_b32_e32 v134, 0
	s_and_not1_b32 s7, s7, exec_lo
	s_delay_alu instid0(VALU_DEP_2) | instskip(NEXT) | instid1(SALU_CYCLE_1)
	s_and_b32 s8, vcc_lo, exec_lo
	s_or_b32 s7, s7, s8
	s_or_b32 exec_lo, exec_lo, s18
	s_and_saveexec_b32 s8, s7
	s_cbranch_execnz .LBB0_767
	s_branch .LBB0_768
.LBB0_938:                              ;   in Loop: Header=BB0_634 Depth=2
	s_mov_b32 s7, -1
	s_mov_b32 s19, exec_lo
                                        ; implicit-def: $sgpr8
	v_cmpx_eq_u16_e64 0x80, v144
; %bb.939:                              ;   in Loop: Header=BB0_634 Depth=2
	s_mov_b32 s8, 0x7f800001
	s_xor_b32 s7, exec_lo, -1
; %bb.940:                              ;   in Loop: Header=BB0_634 Depth=2
	s_or_b32 exec_lo, exec_lo, s19
	s_delay_alu instid0(SALU_CYCLE_1)
	s_and_b32 s7, s7, exec_lo
                                        ; implicit-def: $vgpr144
	s_or_saveexec_b32 s18, s18
	v_mov_b32_e32 v135, s8
	s_xor_b32 exec_lo, exec_lo, s18
	s_cbranch_execz .LBB0_770
.LBB0_941:                              ;   in Loop: Header=BB0_634 Depth=2
	v_cmp_ne_u16_e64 vcc_lo, 0, v144
	v_mov_b32_e32 v135, 0
	s_and_not1_b32 s7, s7, exec_lo
	s_delay_alu instid0(VALU_DEP_2) | instskip(NEXT) | instid1(SALU_CYCLE_1)
	s_and_b32 s8, vcc_lo, exec_lo
	s_or_b32 s7, s7, s8
	s_or_b32 exec_lo, exec_lo, s18
	s_and_saveexec_b32 s8, s7
	s_cbranch_execnz .LBB0_771
	s_branch .LBB0_772
.LBB0_942:                              ;   in Loop: Header=BB0_634 Depth=2
	s_mov_b32 s7, -1
	s_mov_b32 s19, exec_lo
                                        ; implicit-def: $sgpr8
	v_cmpx_eq_u16_e64 0x80, v144
; %bb.943:                              ;   in Loop: Header=BB0_634 Depth=2
	s_mov_b32 s8, 0x7f800001
	s_xor_b32 s7, exec_lo, -1
; %bb.944:                              ;   in Loop: Header=BB0_634 Depth=2
	s_or_b32 exec_lo, exec_lo, s19
	s_delay_alu instid0(SALU_CYCLE_1)
	s_and_b32 s7, s7, exec_lo
                                        ; implicit-def: $vgpr144
	s_or_saveexec_b32 s18, s18
	v_mov_b32_e32 v134, s8
	s_xor_b32 exec_lo, exec_lo, s18
	s_cbranch_execz .LBB0_782
.LBB0_945:                              ;   in Loop: Header=BB0_634 Depth=2
	v_cmp_ne_u16_e64 vcc_lo, 0, v144
	v_mov_b32_e32 v134, 0
	s_and_not1_b32 s7, s7, exec_lo
	s_delay_alu instid0(VALU_DEP_2) | instskip(NEXT) | instid1(SALU_CYCLE_1)
	s_and_b32 s8, vcc_lo, exec_lo
	s_or_b32 s7, s7, s8
	s_or_b32 exec_lo, exec_lo, s18
	s_and_saveexec_b32 s8, s7
	s_cbranch_execnz .LBB0_783
	s_branch .LBB0_784
.LBB0_946:                              ;   in Loop: Header=BB0_634 Depth=2
	s_mov_b32 s7, -1
	s_mov_b32 s19, exec_lo
                                        ; implicit-def: $sgpr8
	v_cmpx_eq_u16_e64 0x80, v144
; %bb.947:                              ;   in Loop: Header=BB0_634 Depth=2
	s_mov_b32 s8, 0x7f800001
	s_xor_b32 s7, exec_lo, -1
; %bb.948:                              ;   in Loop: Header=BB0_634 Depth=2
	s_or_b32 exec_lo, exec_lo, s19
	s_delay_alu instid0(SALU_CYCLE_1)
	s_and_b32 s7, s7, exec_lo
                                        ; implicit-def: $vgpr144
	s_or_saveexec_b32 s18, s18
	v_mov_b32_e32 v135, s8
	s_xor_b32 exec_lo, exec_lo, s18
	s_cbranch_execz .LBB0_786
.LBB0_949:                              ;   in Loop: Header=BB0_634 Depth=2
	v_cmp_ne_u16_e64 vcc_lo, 0, v144
	v_mov_b32_e32 v135, 0
	s_and_not1_b32 s7, s7, exec_lo
	s_delay_alu instid0(VALU_DEP_2) | instskip(NEXT) | instid1(SALU_CYCLE_1)
	s_and_b32 s8, vcc_lo, exec_lo
	s_or_b32 s7, s7, s8
	s_or_b32 exec_lo, exec_lo, s18
	s_and_saveexec_b32 s8, s7
	s_cbranch_execnz .LBB0_787
	s_branch .LBB0_788
.LBB0_950:                              ;   in Loop: Header=BB0_634 Depth=2
	s_mov_b32 s7, -1
	s_mov_b32 s19, exec_lo
                                        ; implicit-def: $sgpr8
	v_cmpx_eq_u16_e64 0x80, v135
; %bb.951:                              ;   in Loop: Header=BB0_634 Depth=2
	s_mov_b32 s8, 0x7f800001
	s_xor_b32 s7, exec_lo, -1
; %bb.952:                              ;   in Loop: Header=BB0_634 Depth=2
	s_or_b32 exec_lo, exec_lo, s19
	s_delay_alu instid0(SALU_CYCLE_1)
	s_and_b32 s7, s7, exec_lo
	s_or_saveexec_b32 s18, s18
	v_mov_b32_e32 v134, s8
	s_xor_b32 exec_lo, exec_lo, s18
	s_cbranch_execz .LBB0_798
.LBB0_953:                              ;   in Loop: Header=BB0_634 Depth=2
	v_cmp_ne_u16_e64 vcc_lo, 0, v135
	v_mov_b32_e32 v134, 0
	s_and_not1_b32 s7, s7, exec_lo
	s_delay_alu instid0(VALU_DEP_2) | instskip(NEXT) | instid1(SALU_CYCLE_1)
	s_and_b32 s8, vcc_lo, exec_lo
	s_or_b32 s7, s7, s8
	s_or_b32 exec_lo, exec_lo, s18
	s_and_saveexec_b32 s8, s7
	s_cbranch_execnz .LBB0_799
	s_branch .LBB0_800
.LBB0_954:                              ;   in Loop: Header=BB0_634 Depth=2
	s_mov_b32 s7, -1
	s_mov_b32 s19, exec_lo
                                        ; implicit-def: $sgpr8
	v_cmpx_eq_u16_e32 0x80, v17
; %bb.955:                              ;   in Loop: Header=BB0_634 Depth=2
	s_mov_b32 s8, 0x7f800001
	s_xor_b32 s7, exec_lo, -1
; %bb.956:                              ;   in Loop: Header=BB0_634 Depth=2
	s_or_b32 exec_lo, exec_lo, s19
	s_delay_alu instid0(SALU_CYCLE_1)
	s_and_b32 s7, s7, exec_lo
	s_or_saveexec_b32 s18, s18
	v_mov_b32_e32 v135, s8
	s_xor_b32 exec_lo, exec_lo, s18
	s_cbranch_execz .LBB0_802
.LBB0_957:                              ;   in Loop: Header=BB0_634 Depth=2
	v_cmp_ne_u16_e32 vcc_lo, 0, v17
	v_mov_b32_e32 v135, 0
	s_and_not1_b32 s7, s7, exec_lo
	s_and_b32 s8, vcc_lo, exec_lo
	s_delay_alu instid0(SALU_CYCLE_1)
	s_or_b32 s7, s7, s8
	s_or_b32 exec_lo, exec_lo, s18
	s_and_saveexec_b32 s8, s7
	s_cbranch_execnz .LBB0_803
	s_branch .LBB0_804
.LBB0_958:                              ;   in Loop: Header=BB0_634 Depth=2
	s_mov_b32 s7, -1
	s_mov_b32 s19, exec_lo
                                        ; implicit-def: $sgpr8
	v_cmpx_eq_u16_e32 0x80, v96
; %bb.959:                              ;   in Loop: Header=BB0_634 Depth=2
	s_mov_b32 s8, 0x7f800001
	s_xor_b32 s7, exec_lo, -1
; %bb.960:                              ;   in Loop: Header=BB0_634 Depth=2
	s_or_b32 exec_lo, exec_lo, s19
	s_delay_alu instid0(SALU_CYCLE_1)
	s_and_b32 s7, s7, exec_lo
                                        ; implicit-def: $vgpr96
	s_or_saveexec_b32 s18, s18
	v_mov_b32_e32 v134, s8
	s_xor_b32 exec_lo, exec_lo, s18
	s_cbranch_execz .LBB0_814
.LBB0_961:                              ;   in Loop: Header=BB0_634 Depth=2
	v_cmp_ne_u16_e32 vcc_lo, 0, v96
	v_mov_b32_e32 v134, 0
	s_and_not1_b32 s7, s7, exec_lo
	s_and_b32 s8, vcc_lo, exec_lo
	s_delay_alu instid0(SALU_CYCLE_1)
	s_or_b32 s7, s7, s8
	s_or_b32 exec_lo, exec_lo, s18
	s_and_saveexec_b32 s8, s7
	s_cbranch_execnz .LBB0_815
	s_branch .LBB0_816
.LBB0_962:                              ;   in Loop: Header=BB0_634 Depth=2
	s_mov_b32 s7, -1
	s_mov_b32 s19, exec_lo
                                        ; implicit-def: $sgpr8
	v_cmpx_eq_u16_e64 0x80, v135
; %bb.963:                              ;   in Loop: Header=BB0_634 Depth=2
	s_mov_b32 s8, 0x7f800001
	s_xor_b32 s7, exec_lo, -1
; %bb.964:                              ;   in Loop: Header=BB0_634 Depth=2
	s_or_b32 exec_lo, exec_lo, s19
	s_delay_alu instid0(SALU_CYCLE_1)
	s_and_b32 s7, s7, exec_lo
                                        ; implicit-def: $vgpr135
	s_or_saveexec_b32 s18, s18
	v_mov_b32_e32 v81, s8
	s_xor_b32 exec_lo, exec_lo, s18
	s_cbranch_execz .LBB0_818
.LBB0_965:                              ;   in Loop: Header=BB0_634 Depth=2
	v_cmp_ne_u16_e64 vcc_lo, 0, v135
	v_mov_b32_e32 v81, 0
	s_and_not1_b32 s7, s7, exec_lo
	s_delay_alu instid0(VALU_DEP_2) | instskip(NEXT) | instid1(SALU_CYCLE_1)
	s_and_b32 s8, vcc_lo, exec_lo
	s_or_b32 s7, s7, s8
	s_or_b32 exec_lo, exec_lo, s18
	s_and_saveexec_b32 s8, s7
	s_cbranch_execnz .LBB0_819
	s_branch .LBB0_820
.LBB0_966:                              ;   in Loop: Header=BB0_634 Depth=2
	s_mov_b32 s7, -1
	s_mov_b32 s19, exec_lo
                                        ; implicit-def: $sgpr8
	v_cmpx_eq_u16_e64 0x80, v134
; %bb.967:                              ;   in Loop: Header=BB0_634 Depth=2
	s_mov_b32 s8, 0x7f800001
	s_xor_b32 s7, exec_lo, -1
; %bb.968:                              ;   in Loop: Header=BB0_634 Depth=2
	s_or_b32 exec_lo, exec_lo, s19
	s_delay_alu instid0(SALU_CYCLE_1)
	s_and_b32 s7, s7, exec_lo
	s_or_saveexec_b32 s18, s18
	v_mov_b32_e32 v96, s8
	s_xor_b32 exec_lo, exec_lo, s18
	s_cbranch_execz .LBB0_830
.LBB0_969:                              ;   in Loop: Header=BB0_634 Depth=2
	v_cmp_ne_u16_e64 vcc_lo, 0, v134
	v_mov_b32_e32 v96, 0
	s_and_not1_b32 s7, s7, exec_lo
	s_delay_alu instid0(VALU_DEP_2) | instskip(NEXT) | instid1(SALU_CYCLE_1)
	s_and_b32 s8, vcc_lo, exec_lo
	s_or_b32 s7, s7, s8
	s_or_b32 exec_lo, exec_lo, s18
	s_and_saveexec_b32 s8, s7
	s_cbranch_execnz .LBB0_831
	s_branch .LBB0_832
.LBB0_970:                              ;   in Loop: Header=BB0_634 Depth=2
	s_mov_b32 s7, -1
	s_mov_b32 s19, exec_lo
                                        ; implicit-def: $sgpr8
	v_cmpx_eq_u16_e64 0x80, v134
; %bb.971:                              ;   in Loop: Header=BB0_634 Depth=2
	s_mov_b32 s8, 0x7f800001
	s_xor_b32 s7, exec_lo, -1
; %bb.972:                              ;   in Loop: Header=BB0_634 Depth=2
	s_or_b32 exec_lo, exec_lo, s19
	s_delay_alu instid0(SALU_CYCLE_1)
	s_and_b32 s7, s7, exec_lo
	s_or_saveexec_b32 s18, s18
	v_mov_b32_e32 v135, s8
	s_xor_b32 exec_lo, exec_lo, s18
	s_cbranch_execz .LBB0_834
.LBB0_973:                              ;   in Loop: Header=BB0_634 Depth=2
	v_cmp_ne_u16_e64 vcc_lo, 0, v134
	v_mov_b32_e32 v135, 0
	s_and_not1_b32 s7, s7, exec_lo
	s_delay_alu instid0(VALU_DEP_2) | instskip(NEXT) | instid1(SALU_CYCLE_1)
	s_and_b32 s8, vcc_lo, exec_lo
	s_or_b32 s7, s7, s8
	s_or_b32 exec_lo, exec_lo, s18
	s_and_saveexec_b32 s8, s7
	s_cbranch_execnz .LBB0_835
	s_branch .LBB0_836
.LBB0_974:                              ;   in Loop: Header=BB0_634 Depth=2
	s_mov_b32 s7, -1
	s_mov_b32 s19, exec_lo
                                        ; implicit-def: $sgpr8
	v_cmpx_eq_u16_e64 0x80, v144
; %bb.975:                              ;   in Loop: Header=BB0_634 Depth=2
	s_mov_b32 s8, 0x7f800001
	s_xor_b32 s7, exec_lo, -1
; %bb.976:                              ;   in Loop: Header=BB0_634 Depth=2
	s_or_b32 exec_lo, exec_lo, s19
	s_delay_alu instid0(SALU_CYCLE_1)
	s_and_b32 s7, s7, exec_lo
                                        ; implicit-def: $vgpr144
	s_or_saveexec_b32 s18, s18
	v_mov_b32_e32 v134, s8
	s_xor_b32 exec_lo, exec_lo, s18
	s_cbranch_execz .LBB0_846
.LBB0_977:                              ;   in Loop: Header=BB0_634 Depth=2
	v_cmp_ne_u16_e64 vcc_lo, 0, v144
	v_mov_b32_e32 v134, 0
	s_and_not1_b32 s7, s7, exec_lo
	s_delay_alu instid0(VALU_DEP_2) | instskip(NEXT) | instid1(SALU_CYCLE_1)
	s_and_b32 s8, vcc_lo, exec_lo
	s_or_b32 s7, s7, s8
	s_or_b32 exec_lo, exec_lo, s18
	s_and_saveexec_b32 s8, s7
	s_cbranch_execnz .LBB0_847
	s_branch .LBB0_848
.LBB0_978:                              ;   in Loop: Header=BB0_634 Depth=2
	s_mov_b32 s7, -1
	s_mov_b32 s19, exec_lo
                                        ; implicit-def: $sgpr8
	v_cmpx_eq_u16_e32 0x80, v87
; %bb.979:                              ;   in Loop: Header=BB0_634 Depth=2
	s_mov_b32 s8, 0x7f800001
	s_xor_b32 s7, exec_lo, -1
; %bb.980:                              ;   in Loop: Header=BB0_634 Depth=2
	s_or_b32 exec_lo, exec_lo, s19
	s_delay_alu instid0(SALU_CYCLE_1)
	s_and_b32 s7, s7, exec_lo
                                        ; implicit-def: $vgpr87
	s_or_saveexec_b32 s18, s18
	v_mov_b32_e32 v135, s8
	s_xor_b32 exec_lo, exec_lo, s18
	s_cbranch_execz .LBB0_850
.LBB0_981:                              ;   in Loop: Header=BB0_634 Depth=2
	v_cmp_ne_u16_e32 vcc_lo, 0, v87
	v_mov_b32_e32 v135, 0
	s_and_not1_b32 s7, s7, exec_lo
	s_and_b32 s8, vcc_lo, exec_lo
	s_delay_alu instid0(SALU_CYCLE_1)
	s_or_b32 s7, s7, s8
	s_or_b32 exec_lo, exec_lo, s18
	v_lshl_or_b32 v87, v18, 16, v133
	s_and_saveexec_b32 s8, s7
	s_cbranch_execnz .LBB0_851
	s_branch .LBB0_852
.LBB0_982:                              ;   in Loop: Header=BB0_634 Depth=2
	s_mov_b32 s7, -1
	s_mov_b32 s19, exec_lo
                                        ; implicit-def: $sgpr8
	v_cmpx_eq_u16_e64 0x80, v134
; %bb.983:                              ;   in Loop: Header=BB0_634 Depth=2
	s_mov_b32 s8, 0x7f800001
	s_xor_b32 s7, exec_lo, -1
; %bb.984:                              ;   in Loop: Header=BB0_634 Depth=2
	s_or_b32 exec_lo, exec_lo, s19
	s_delay_alu instid0(SALU_CYCLE_1)
	s_and_b32 s7, s7, exec_lo
	s_or_saveexec_b32 s18, s18
	v_mov_b32_e32 v133, s8
	s_xor_b32 exec_lo, exec_lo, s18
	s_cbranch_execz .LBB0_862
.LBB0_985:                              ;   in Loop: Header=BB0_634 Depth=2
	v_cmp_ne_u16_e64 vcc_lo, 0, v134
	v_mov_b32_e32 v133, 0
	s_and_not1_b32 s7, s7, exec_lo
	s_delay_alu instid0(VALU_DEP_2) | instskip(NEXT) | instid1(SALU_CYCLE_1)
	s_and_b32 s8, vcc_lo, exec_lo
	s_or_b32 s7, s7, s8
	s_or_b32 exec_lo, exec_lo, s18
	s_and_saveexec_b32 s8, s7
	s_cbranch_execnz .LBB0_863
	s_branch .LBB0_864
.LBB0_986:                              ;   in Loop: Header=BB0_634 Depth=2
	s_mov_b32 s7, -1
	s_mov_b32 s19, exec_lo
                                        ; implicit-def: $sgpr8
	v_cmpx_eq_u16_e32 0x80, v19
; %bb.987:                              ;   in Loop: Header=BB0_634 Depth=2
	s_mov_b32 s8, 0x7f800001
	s_xor_b32 s7, exec_lo, -1
; %bb.988:                              ;   in Loop: Header=BB0_634 Depth=2
	s_or_b32 exec_lo, exec_lo, s19
	s_delay_alu instid0(SALU_CYCLE_1)
	s_and_b32 s7, s7, exec_lo
	s_or_saveexec_b32 s18, s18
	v_mov_b32_e32 v134, s8
	s_xor_b32 exec_lo, exec_lo, s18
	s_cbranch_execz .LBB0_866
.LBB0_989:                              ;   in Loop: Header=BB0_634 Depth=2
	v_cmp_ne_u16_e32 vcc_lo, 0, v19
	v_mov_b32_e32 v134, 0
	s_and_not1_b32 s7, s7, exec_lo
	s_and_b32 s8, vcc_lo, exec_lo
	s_delay_alu instid0(SALU_CYCLE_1)
	s_or_b32 s7, s7, s8
	s_or_b32 exec_lo, exec_lo, s18
	s_and_saveexec_b32 s8, s7
	s_cbranch_execnz .LBB0_867
	s_branch .LBB0_868
.LBB0_990:                              ;   in Loop: Header=BB0_40 Depth=1
	s_or_b32 exec_lo, exec_lo, s17
.LBB0_991:                              ;   in Loop: Header=BB0_40 Depth=1
	s_delay_alu instid0(SALU_CYCLE_1)
	s_or_b32 exec_lo, exec_lo, s9
	s_and_saveexec_b32 s7, s3
	s_cbranch_execz .LBB0_1013
; %bb.992:                              ;   in Loop: Header=BB0_40 Depth=1
	s_and_saveexec_b32 s8, s4
	s_delay_alu instid0(SALU_CYCLE_1)
	s_xor_b32 s8, exec_lo, s8
	s_cbranch_execz .LBB0_1010
; %bb.993:                              ;   in Loop: Header=BB0_40 Depth=1
	s_and_saveexec_b32 s9, s5
	s_cbranch_execz .LBB0_1009
; %bb.994:                              ;   in Loop: Header=BB0_40 Depth=1
	s_mov_b32 s18, exec_lo
	s_mov_b32 s17, exec_lo
	v_mbcnt_lo_u32_b32 v17, s18, 0
	s_waitcnt vmcnt(0) lgkmcnt(0)
	s_waitcnt_vscnt null, 0x0
	buffer_gl1_inv
	buffer_gl0_inv
	v_cmpx_eq_u32_e32 0, v17
	s_cbranch_execz .LBB0_996
; %bb.995:                              ;   in Loop: Header=BB0_40 Depth=1
	s_bcnt1_i32_b32 s18, s18
	s_delay_alu instid0(SALU_CYCLE_1)
	v_mov_b32_e32 v54, s18
	ds_add_u64 v0, v[54:55]
	s_cbranch_execnz .LBB0_1082
.LBB0_996:                              ;   in Loop: Header=BB0_40 Depth=1
	s_or_b32 exec_lo, exec_lo, s17
	s_cbranch_execnz .LBB0_1070
; %bb.997:                              ;   in Loop: Header=BB0_40 Depth=1
	ds_load_b64 v[17:18], v0
	v_add_co_u32 v2, vcc_lo, v2, v101
	v_add_co_ci_u32_e32 v3, vcc_lo, v3, v112, vcc_lo
	s_mov_b32 s17, exec_lo
	s_waitcnt lgkmcnt(0)
	s_delay_alu instid0(VALU_DEP_1)
	v_cmpx_lt_u64_e64 v[17:18], v[2:3]
	s_cbranch_execz .LBB0_1008
; %bb.998:                              ;   in Loop: Header=BB0_40 Depth=1
	s_mov_b32 s18, 0
	s_mov_b32 s21, 0
                                        ; implicit-def: $sgpr19
                                        ; implicit-def: $sgpr20
	s_branch .LBB0_1000
.LBB0_999:                              ;   in Loop: Header=BB0_1000 Depth=2
	s_or_b32 exec_lo, exec_lo, s24
	s_delay_alu instid0(SALU_CYCLE_1) | instskip(NEXT) | instid1(SALU_CYCLE_1)
	s_and_b32 s22, exec_lo, s23
	s_or_b32 s18, s22, s18
	s_and_not1_b32 s19, s19, exec_lo
	s_and_b32 s22, s20, exec_lo
	s_delay_alu instid0(SALU_CYCLE_1)
	s_or_b32 s19, s19, s22
	s_and_not1_b32 exec_lo, exec_lo, s18
	s_cbranch_execz .LBB0_1006
.LBB0_1000:                             ;   Parent Loop BB0_40 Depth=1
                                        ; =>  This Inner Loop Header: Depth=2
	s_add_i32 s21, s21, 1
                                        ; implicit-def: $sgpr23
	s_delay_alu instid0(SALU_CYCLE_1) | instskip(SKIP_1) | instid1(SALU_CYCLE_1)
	s_cmpk_lg_i32 s21, 0x2710
	s_cselect_b32 s22, -1, 0
	s_and_b32 vcc_lo, exec_lo, s22
	s_cbranch_vccz .LBB0_1004
.LBB0_1001:                             ;   in Loop: Header=BB0_1000 Depth=2
	s_and_not1_b32 s20, s20, exec_lo
	s_and_b32 s24, s23, exec_lo
	s_mov_b32 s23, -1
	s_or_b32 s20, s20, s24
	s_and_saveexec_b32 s24, s22
	s_cbranch_execz .LBB0_999
; %bb.1002:                             ;   in Loop: Header=BB0_1000 Depth=2
	s_sleep 1
	s_cbranch_execnz .LBB0_1090
; %bb.1003:                             ;   in Loop: Header=BB0_1000 Depth=2
	ds_load_b64 v[17:18], v0
	s_and_not1_b32 s20, s20, exec_lo
	s_waitcnt lgkmcnt(0)
	v_cmp_ge_u64_e32 vcc_lo, v[17:18], v[2:3]
	s_or_not1_b32 s23, vcc_lo, exec_lo
	s_branch .LBB0_999
.LBB0_1004:                             ;   in Loop: Header=BB0_1000 Depth=2
	s_cbranch_execnz .LBB0_1092
; %bb.1005:                             ;   in Loop: Header=BB0_1000 Depth=2
	ds_load_b64 v[17:18], v0
	s_and_not1_b32 s22, s22, exec_lo
	s_mov_b32 s21, 0
	s_mov_b32 s23, -1
	s_waitcnt lgkmcnt(0)
	flat_load_b32 v17, v[17:18] glc
	s_waitcnt vmcnt(0) lgkmcnt(0)
	buffer_gl1_inv
	buffer_gl0_inv
	v_cmp_eq_u32_e32 vcc_lo, 0, v17
	s_and_b32 s24, vcc_lo, exec_lo
	s_delay_alu instid0(SALU_CYCLE_1)
	s_or_b32 s22, s22, s24
	s_branch .LBB0_1001
.LBB0_1006:                             ;   in Loop: Header=BB0_40 Depth=1
	s_or_b32 exec_lo, exec_lo, s18
	s_and_saveexec_b32 s18, s19
	s_delay_alu instid0(SALU_CYCLE_1)
	s_xor_b32 s18, exec_lo, s18
	s_cbranch_execz .LBB0_1008
; %bb.1007:                             ;   in Loop: Header=BB0_40 Depth=1
	ds_store_b32 v0, v130
	s_cbranch_execnz .LBB0_1109
.LBB0_1008:                             ;   in Loop: Header=BB0_40 Depth=1
	s_or_b32 exec_lo, exec_lo, s17
	;;#ASMSTART
	s_wakeup
	;;#ASMEND
.LBB0_1009:                             ;   in Loop: Header=BB0_40 Depth=1
	s_or_b32 exec_lo, exec_lo, s9
.LBB0_1010:                             ;   in Loop: Header=BB0_40 Depth=1
	s_and_not1_saveexec_b32 s8, s8
	s_cbranch_execz .LBB0_1012
; %bb.1011:                             ;   in Loop: Header=BB0_40 Depth=1
	s_waitcnt vmcnt(0) lgkmcnt(0)
	s_waitcnt_vscnt null, 0x0
	buffer_gl1_inv
	buffer_gl0_inv
	s_barrier
.LBB0_1012:                             ;   in Loop: Header=BB0_40 Depth=1
	s_or_b32 exec_lo, exec_lo, s8
.LBB0_1013:                             ;   in Loop: Header=BB0_40 Depth=1
	s_delay_alu instid0(SALU_CYCLE_1)
	s_or_b32 exec_lo, exec_lo, s7
	s_and_saveexec_b32 s7, s6
	s_cbranch_execz .LBB0_1015
; %bb.1014:                             ;   in Loop: Header=BB0_40 Depth=1
	v_add_co_u32 v48, vcc_lo, v48, 1
	v_add_co_ci_u32_e32 v49, vcc_lo, 0, v49, vcc_lo
	s_waitcnt vmcnt(0) lgkmcnt(0)
	s_waitcnt_vscnt null, 0x0
	flat_store_b64 v[36:37], v[48:49]
.LBB0_1015:                             ;   in Loop: Header=BB0_40 Depth=1
	s_or_b32 exec_lo, exec_lo, s7
	v_add_co_u32 v9, vcc_lo, v9, v64
	v_add_co_ci_u32_e32 v10, vcc_lo, 0, v10, vcc_lo
	v_add_co_u32 v32, vcc_lo, v32, 1
	v_add_co_ci_u32_e32 v33, vcc_lo, 0, v33, vcc_lo
	s_delay_alu instid0(VALU_DEP_3) | instskip(SKIP_1) | instid1(VALU_DEP_1)
	v_cmp_ge_u64_e32 vcc_lo, v[9:10], v[7:8]
	v_add_co_u32 v5, s7, v5, v64
	v_add_co_ci_u32_e64 v6, s7, 0, v6, s7
	s_or_b32 s15, vcc_lo, s15
	s_delay_alu instid0(SALU_CYCLE_1)
	s_and_not1_b32 exec_lo, exec_lo, s15
	s_cbranch_execnz .LBB0_40
; %bb.1016:
	s_or_b32 exec_lo, exec_lo, s15
.LBB0_1017:
	s_delay_alu instid0(SALU_CYCLE_1)
	s_or_b32 exec_lo, exec_lo, s13
	s_and_saveexec_b32 s1, s12
	s_cbranch_execz .LBB0_1019
; %bb.1018:
	s_waitcnt lgkmcnt(0)
	flat_store_b64 v[27:28], v[48:49] offset:104
.LBB0_1019:
	s_or_b32 exec_lo, exec_lo, s1
	s_and_saveexec_b32 s1, s0
	s_cbranch_execz .LBB0_1021
; %bb.1020:
	s_waitcnt lgkmcnt(0)
	flat_store_b64 v[34:35], v[15:16] offset:104
.LBB0_1021:
	s_or_b32 exec_lo, exec_lo, s1
	s_delay_alu instid0(SALU_CYCLE_1)
	s_mov_b32 s0, exec_lo
	v_cmpx_ne_u32_e32 32, v1
	s_cbranch_execz .LBB0_1100
; %bb.1022:
	s_mov_b32 s1, exec_lo
	v_cmpx_ne_u32_e64 v98, v1
	s_xor_b32 s1, exec_lo, s1
	s_cbranch_execz .LBB0_1098
; %bb.1023:
	v_and_b32_e32 v0, 31, v31
	s_mov_b32 s2, exec_lo
	s_delay_alu instid0(VALU_DEP_1)
	v_cmpx_eq_u32_e32 0, v0
	s_cbranch_execz .LBB0_1097
; %bb.1024:
	s_mov_b32 s4, exec_lo
	s_mov_b32 s3, exec_lo
	v_mbcnt_lo_u32_b32 v0, s4, 0
	s_waitcnt vmcnt(0) lgkmcnt(0)
	s_waitcnt_vscnt null, 0x0
	buffer_gl1_inv
	buffer_gl0_inv
	v_cmpx_eq_u32_e32 0, v0
	s_cbranch_execz .LBB0_1026
; %bb.1025:
	s_bcnt1_i32_b32 s4, s4
	s_delay_alu instid0(SALU_CYCLE_1)
	v_dual_mov_b32 v5, 0 :: v_dual_mov_b32 v4, s4
	ds_add_u64 v0, v[4:5]
	s_cbranch_execnz .LBB0_1058
.LBB0_1026:
	s_or_b32 exec_lo, exec_lo, s3
	s_cbranch_execnz .LBB0_1043
; %bb.1027:
	v_ashrrev_i32_e32 v0, 31, v1
	s_mov_b32 s3, exec_lo
	s_delay_alu instid0(VALU_DEP_1) | instskip(NEXT) | instid1(VALU_DEP_1)
	v_lshrrev_b32_e32 v0, 27, v0
	v_add_nc_u32_e32 v0, v1, v0
	ds_load_b64 v[4:5], v0
	v_ashrrev_i32_e32 v0, 5, v0
	s_delay_alu instid0(VALU_DEP_1) | instskip(SKIP_1) | instid1(VALU_DEP_2)
	v_ashrrev_i32_e32 v1, 31, v0
	v_add_co_u32 v0, vcc_lo, v2, v0
	v_add_co_ci_u32_e32 v1, vcc_lo, v3, v1, vcc_lo
	s_waitcnt lgkmcnt(0)
	s_delay_alu instid0(VALU_DEP_1)
	v_cmpx_lt_u64_e64 v[4:5], v[0:1]
	s_cbranch_execz .LBB0_1096
; %bb.1028:
	s_mov_b32 s4, 0
	s_mov_b32 s7, 0
                                        ; implicit-def: $sgpr5
                                        ; implicit-def: $sgpr6
	s_branch .LBB0_1048
.LBB0_1029:
	s_trap 2
	s_sendmsg_rtn_b32 s0, sendmsg(MSG_RTN_GET_DOORBELL)
	s_mov_b32 ttmp2, m0
	s_waitcnt lgkmcnt(0)
	s_and_b32 s0, s0, 0x3ff
	s_delay_alu instid0(SALU_CYCLE_1) | instskip(NEXT) | instid1(SALU_CYCLE_1)
	s_bitset1_b32 s0, 10
	s_mov_b32 m0, s0
	s_sendmsg sendmsg(MSG_INTERRUPT)
	s_mov_b32 m0, ttmp2
.LBB0_1030:                             ; =>This Inner Loop Header: Depth=1
	s_sethalt 5
	s_branch .LBB0_1030
.LBB0_1031:
	s_trap 2
	s_sendmsg_rtn_b32 s0, sendmsg(MSG_RTN_GET_DOORBELL)
	s_mov_b32 ttmp2, m0
	s_waitcnt lgkmcnt(0)
	s_and_b32 s0, s0, 0x3ff
	s_delay_alu instid0(SALU_CYCLE_1) | instskip(NEXT) | instid1(SALU_CYCLE_1)
	s_bitset1_b32 s0, 10
	s_mov_b32 m0, s0
	s_sendmsg sendmsg(MSG_INTERRUPT)
	s_mov_b32 m0, ttmp2
.LBB0_1032:                             ; =>This Inner Loop Header: Depth=1
	s_sethalt 5
	s_branch .LBB0_1032
.LBB0_1033:
	s_trap 2
	s_sendmsg_rtn_b32 s0, sendmsg(MSG_RTN_GET_DOORBELL)
	s_mov_b32 ttmp2, m0
	s_waitcnt lgkmcnt(0)
	s_and_b32 s0, s0, 0x3ff
	s_delay_alu instid0(SALU_CYCLE_1) | instskip(NEXT) | instid1(SALU_CYCLE_1)
	s_bitset1_b32 s0, 10
	s_mov_b32 m0, s0
	s_sendmsg sendmsg(MSG_INTERRUPT)
	s_mov_b32 m0, ttmp2
.LBB0_1034:                             ; =>This Inner Loop Header: Depth=1
	s_sethalt 5
	s_branch .LBB0_1034
.LBB0_1035:
	s_trap 2
	s_sendmsg_rtn_b32 s0, sendmsg(MSG_RTN_GET_DOORBELL)
	s_mov_b32 ttmp2, m0
	s_waitcnt lgkmcnt(0)
	s_and_b32 s0, s0, 0x3ff
	s_delay_alu instid0(SALU_CYCLE_1) | instskip(NEXT) | instid1(SALU_CYCLE_1)
	s_bitset1_b32 s0, 10
	s_mov_b32 m0, s0
	s_sendmsg sendmsg(MSG_INTERRUPT)
	s_mov_b32 m0, ttmp2
.LBB0_1036:                             ; =>This Inner Loop Header: Depth=1
	s_sethalt 5
	s_branch .LBB0_1036
.LBB0_1037:
	s_trap 2
	s_sendmsg_rtn_b32 s0, sendmsg(MSG_RTN_GET_DOORBELL)
	s_mov_b32 ttmp2, m0
	s_waitcnt lgkmcnt(0)
	s_and_b32 s0, s0, 0x3ff
	s_delay_alu instid0(SALU_CYCLE_1) | instskip(NEXT) | instid1(SALU_CYCLE_1)
	s_bitset1_b32 s0, 10
	s_mov_b32 m0, s0
	s_sendmsg sendmsg(MSG_INTERRUPT)
	s_mov_b32 m0, ttmp2
.LBB0_1038:                             ; =>This Inner Loop Header: Depth=1
	s_sethalt 5
	s_branch .LBB0_1038
.LBB0_1039:
	s_trap 2
	s_sendmsg_rtn_b32 s0, sendmsg(MSG_RTN_GET_DOORBELL)
	s_mov_b32 ttmp2, m0
	s_waitcnt lgkmcnt(0)
	s_and_b32 s0, s0, 0x3ff
	s_delay_alu instid0(SALU_CYCLE_1) | instskip(NEXT) | instid1(SALU_CYCLE_1)
	s_bitset1_b32 s0, 10
	s_mov_b32 m0, s0
	s_sendmsg sendmsg(MSG_INTERRUPT)
	s_mov_b32 m0, ttmp2
.LBB0_1040:                             ; =>This Inner Loop Header: Depth=1
	s_sethalt 5
	s_branch .LBB0_1040
.LBB0_1041:
	s_trap 2
	s_sendmsg_rtn_b32 s0, sendmsg(MSG_RTN_GET_DOORBELL)
	s_mov_b32 ttmp2, m0
	s_waitcnt lgkmcnt(0)
	s_and_b32 s0, s0, 0x3ff
	s_delay_alu instid0(SALU_CYCLE_1) | instskip(NEXT) | instid1(SALU_CYCLE_1)
	s_bitset1_b32 s0, 10
	s_mov_b32 m0, s0
	s_sendmsg sendmsg(MSG_INTERRUPT)
	s_mov_b32 m0, ttmp2
.LBB0_1042:                             ; =>This Inner Loop Header: Depth=1
	s_sethalt 5
	s_branch .LBB0_1042
.LBB0_1043:
	s_trap 2
	s_sendmsg_rtn_b32 s0, sendmsg(MSG_RTN_GET_DOORBELL)
	s_mov_b32 ttmp2, m0
	s_waitcnt lgkmcnt(0)
	s_and_b32 s0, s0, 0x3ff
	s_delay_alu instid0(SALU_CYCLE_1) | instskip(NEXT) | instid1(SALU_CYCLE_1)
	s_bitset1_b32 s0, 10
	s_mov_b32 m0, s0
	s_sendmsg sendmsg(MSG_INTERRUPT)
	s_mov_b32 m0, ttmp2
.LBB0_1044:                             ; =>This Inner Loop Header: Depth=1
	s_sethalt 5
	s_branch .LBB0_1044
.LBB0_1045:
	s_trap 2
	s_sendmsg_rtn_b32 s0, sendmsg(MSG_RTN_GET_DOORBELL)
	s_mov_b32 ttmp2, m0
	s_waitcnt lgkmcnt(0)
	s_and_b32 s0, s0, 0x3ff
	s_delay_alu instid0(SALU_CYCLE_1) | instskip(NEXT) | instid1(SALU_CYCLE_1)
	s_bitset1_b32 s0, 10
	s_mov_b32 m0, s0
	s_sendmsg sendmsg(MSG_INTERRUPT)
	s_mov_b32 m0, ttmp2
.LBB0_1046:                             ; =>This Inner Loop Header: Depth=1
	s_sethalt 5
	s_branch .LBB0_1046
.LBB0_1047:                             ;   in Loop: Header=BB0_1048 Depth=1
	s_or_b32 exec_lo, exec_lo, s10
	s_delay_alu instid0(SALU_CYCLE_1) | instskip(NEXT) | instid1(SALU_CYCLE_1)
	s_and_b32 s8, exec_lo, s9
	s_or_b32 s4, s8, s4
	s_and_not1_b32 s5, s5, exec_lo
	s_and_b32 s8, s6, exec_lo
	s_delay_alu instid0(SALU_CYCLE_1)
	s_or_b32 s5, s5, s8
	s_and_not1_b32 exec_lo, exec_lo, s4
	s_cbranch_execz .LBB0_1094
.LBB0_1048:                             ; =>This Inner Loop Header: Depth=1
	s_add_i32 s7, s7, 1
                                        ; implicit-def: $sgpr9
	s_delay_alu instid0(SALU_CYCLE_1) | instskip(SKIP_1) | instid1(SALU_CYCLE_1)
	s_cmpk_lg_i32 s7, 0x2710
	s_cselect_b32 s8, -1, 0
	s_and_b32 vcc_lo, exec_lo, s8
	s_cbranch_vccz .LBB0_1052
.LBB0_1049:                             ;   in Loop: Header=BB0_1048 Depth=1
	s_and_not1_b32 s6, s6, exec_lo
	s_and_b32 s10, s9, exec_lo
	s_mov_b32 s9, -1
	s_or_b32 s6, s6, s10
	s_and_saveexec_b32 s10, s8
	s_cbranch_execz .LBB0_1047
; %bb.1050:                             ;   in Loop: Header=BB0_1048 Depth=1
	s_sleep 1
	s_cbranch_execnz .LBB0_1072
; %bb.1051:                             ;   in Loop: Header=BB0_1048 Depth=1
	ds_load_b64 v[2:3], v0
	s_and_not1_b32 s6, s6, exec_lo
	s_waitcnt lgkmcnt(0)
	v_cmp_ge_u64_e32 vcc_lo, v[2:3], v[0:1]
	s_or_not1_b32 s9, vcc_lo, exec_lo
	s_branch .LBB0_1047
.LBB0_1052:                             ;   in Loop: Header=BB0_1048 Depth=1
	s_cbranch_execnz .LBB0_1078
; %bb.1053:                             ;   in Loop: Header=BB0_1048 Depth=1
	ds_load_b64 v[2:3], v0
	s_and_not1_b32 s8, s8, exec_lo
	s_mov_b32 s7, 0
	s_mov_b32 s9, -1
	s_waitcnt lgkmcnt(0)
	flat_load_b32 v2, v[2:3] glc
	s_waitcnt vmcnt(0) lgkmcnt(0)
	buffer_gl1_inv
	buffer_gl0_inv
	v_cmp_eq_u32_e32 vcc_lo, 0, v2
	s_and_b32 s10, vcc_lo, exec_lo
	s_delay_alu instid0(SALU_CYCLE_1)
	s_or_b32 s8, s8, s10
	s_branch .LBB0_1049
.LBB0_1054:
	s_trap 2
	s_sendmsg_rtn_b32 s0, sendmsg(MSG_RTN_GET_DOORBELL)
	s_mov_b32 ttmp2, m0
	s_waitcnt lgkmcnt(0)
	s_and_b32 s0, s0, 0x3ff
	s_delay_alu instid0(SALU_CYCLE_1) | instskip(NEXT) | instid1(SALU_CYCLE_1)
	s_bitset1_b32 s0, 10
	s_mov_b32 m0, s0
	s_sendmsg sendmsg(MSG_INTERRUPT)
	s_mov_b32 m0, ttmp2
.LBB0_1055:                             ; =>This Inner Loop Header: Depth=1
	s_sethalt 5
	s_branch .LBB0_1055
.LBB0_1056:
	s_trap 2
	s_sendmsg_rtn_b32 s0, sendmsg(MSG_RTN_GET_DOORBELL)
	s_mov_b32 ttmp2, m0
	s_waitcnt lgkmcnt(0)
	s_and_b32 s0, s0, 0x3ff
	s_delay_alu instid0(SALU_CYCLE_1) | instskip(NEXT) | instid1(SALU_CYCLE_1)
	s_bitset1_b32 s0, 10
	s_mov_b32 m0, s0
	s_sendmsg sendmsg(MSG_INTERRUPT)
	s_mov_b32 m0, ttmp2
.LBB0_1057:                             ; =>This Inner Loop Header: Depth=1
	s_sethalt 5
	s_branch .LBB0_1057
.LBB0_1058:
	s_trap 2
	s_sendmsg_rtn_b32 s0, sendmsg(MSG_RTN_GET_DOORBELL)
	s_mov_b32 ttmp2, m0
	s_waitcnt lgkmcnt(0)
	s_and_b32 s0, s0, 0x3ff
	s_delay_alu instid0(SALU_CYCLE_1) | instskip(NEXT) | instid1(SALU_CYCLE_1)
	s_bitset1_b32 s0, 10
	s_mov_b32 m0, s0
	s_sendmsg sendmsg(MSG_INTERRUPT)
	s_mov_b32 m0, ttmp2
.LBB0_1059:                             ; =>This Inner Loop Header: Depth=1
	s_sethalt 5
	s_branch .LBB0_1059
.LBB0_1060:
	s_trap 2
	s_sendmsg_rtn_b32 s0, sendmsg(MSG_RTN_GET_DOORBELL)
	s_mov_b32 ttmp2, m0
	s_waitcnt lgkmcnt(0)
	s_and_b32 s0, s0, 0x3ff
	s_delay_alu instid0(SALU_CYCLE_1) | instskip(NEXT) | instid1(SALU_CYCLE_1)
	s_bitset1_b32 s0, 10
	s_mov_b32 m0, s0
	s_sendmsg sendmsg(MSG_INTERRUPT)
	s_mov_b32 m0, ttmp2
.LBB0_1061:                             ; =>This Inner Loop Header: Depth=1
	s_sethalt 5
	s_branch .LBB0_1061
.LBB0_1062:
	s_trap 2
	s_sendmsg_rtn_b32 s0, sendmsg(MSG_RTN_GET_DOORBELL)
	s_mov_b32 ttmp2, m0
	s_waitcnt lgkmcnt(0)
	s_and_b32 s0, s0, 0x3ff
	s_delay_alu instid0(SALU_CYCLE_1) | instskip(NEXT) | instid1(SALU_CYCLE_1)
	s_bitset1_b32 s0, 10
	s_mov_b32 m0, s0
	s_sendmsg sendmsg(MSG_INTERRUPT)
	s_mov_b32 m0, ttmp2
.LBB0_1063:                             ; =>This Inner Loop Header: Depth=1
	s_sethalt 5
	s_branch .LBB0_1063
.LBB0_1064:
	s_trap 2
	s_sendmsg_rtn_b32 s0, sendmsg(MSG_RTN_GET_DOORBELL)
	s_mov_b32 ttmp2, m0
	s_waitcnt lgkmcnt(0)
	s_and_b32 s0, s0, 0x3ff
	s_delay_alu instid0(SALU_CYCLE_1) | instskip(NEXT) | instid1(SALU_CYCLE_1)
	s_bitset1_b32 s0, 10
	s_mov_b32 m0, s0
	s_sendmsg sendmsg(MSG_INTERRUPT)
	s_mov_b32 m0, ttmp2
.LBB0_1065:                             ; =>This Inner Loop Header: Depth=1
	s_sethalt 5
	s_branch .LBB0_1065
.LBB0_1066:
	s_trap 2
	s_sendmsg_rtn_b32 s0, sendmsg(MSG_RTN_GET_DOORBELL)
	s_mov_b32 ttmp2, m0
	s_waitcnt lgkmcnt(0)
	s_and_b32 s0, s0, 0x3ff
	s_delay_alu instid0(SALU_CYCLE_1) | instskip(NEXT) | instid1(SALU_CYCLE_1)
	s_bitset1_b32 s0, 10
	s_mov_b32 m0, s0
	s_sendmsg sendmsg(MSG_INTERRUPT)
	s_mov_b32 m0, ttmp2
.LBB0_1067:                             ; =>This Inner Loop Header: Depth=1
	s_sethalt 5
	s_branch .LBB0_1067
.LBB0_1068:
	s_trap 2
	s_sendmsg_rtn_b32 s0, sendmsg(MSG_RTN_GET_DOORBELL)
	s_mov_b32 ttmp2, m0
	s_waitcnt lgkmcnt(0)
	s_and_b32 s0, s0, 0x3ff
	s_delay_alu instid0(SALU_CYCLE_1) | instskip(NEXT) | instid1(SALU_CYCLE_1)
	s_bitset1_b32 s0, 10
	s_mov_b32 m0, s0
	s_sendmsg sendmsg(MSG_INTERRUPT)
	s_mov_b32 m0, ttmp2
.LBB0_1069:                             ; =>This Inner Loop Header: Depth=1
	s_sethalt 5
	s_branch .LBB0_1069
.LBB0_1070:
	s_trap 2
	s_sendmsg_rtn_b32 s0, sendmsg(MSG_RTN_GET_DOORBELL)
	s_mov_b32 ttmp2, m0
	s_waitcnt lgkmcnt(0)
	s_and_b32 s0, s0, 0x3ff
	s_delay_alu instid0(SALU_CYCLE_1) | instskip(NEXT) | instid1(SALU_CYCLE_1)
	s_bitset1_b32 s0, 10
	s_mov_b32 m0, s0
	s_sendmsg sendmsg(MSG_INTERRUPT)
	s_mov_b32 m0, ttmp2
.LBB0_1071:                             ; =>This Inner Loop Header: Depth=1
	s_sethalt 5
	s_branch .LBB0_1071
.LBB0_1072:
	s_trap 2
	s_sendmsg_rtn_b32 s0, sendmsg(MSG_RTN_GET_DOORBELL)
	s_mov_b32 ttmp2, m0
	s_waitcnt lgkmcnt(0)
	s_and_b32 s0, s0, 0x3ff
	s_delay_alu instid0(SALU_CYCLE_1) | instskip(NEXT) | instid1(SALU_CYCLE_1)
	s_bitset1_b32 s0, 10
	s_mov_b32 m0, s0
	s_sendmsg sendmsg(MSG_INTERRUPT)
	s_mov_b32 m0, ttmp2
.LBB0_1073:                             ; =>This Inner Loop Header: Depth=1
	s_sethalt 5
	s_branch .LBB0_1073
.LBB0_1074:
	s_trap 2
	s_sendmsg_rtn_b32 s0, sendmsg(MSG_RTN_GET_DOORBELL)
	s_mov_b32 ttmp2, m0
	s_waitcnt lgkmcnt(0)
	s_and_b32 s0, s0, 0x3ff
	s_delay_alu instid0(SALU_CYCLE_1) | instskip(NEXT) | instid1(SALU_CYCLE_1)
	s_bitset1_b32 s0, 10
	s_mov_b32 m0, s0
	s_sendmsg sendmsg(MSG_INTERRUPT)
	s_mov_b32 m0, ttmp2
.LBB0_1075:                             ; =>This Inner Loop Header: Depth=1
	s_sethalt 5
	s_branch .LBB0_1075
.LBB0_1076:
	s_trap 2
	s_sendmsg_rtn_b32 s0, sendmsg(MSG_RTN_GET_DOORBELL)
	s_mov_b32 ttmp2, m0
	s_waitcnt lgkmcnt(0)
	s_and_b32 s0, s0, 0x3ff
	s_delay_alu instid0(SALU_CYCLE_1) | instskip(NEXT) | instid1(SALU_CYCLE_1)
	s_bitset1_b32 s0, 10
	s_mov_b32 m0, s0
	s_sendmsg sendmsg(MSG_INTERRUPT)
	s_mov_b32 m0, ttmp2
.LBB0_1077:                             ; =>This Inner Loop Header: Depth=1
	s_sethalt 5
	s_branch .LBB0_1077
.LBB0_1078:
	s_trap 2
	s_sendmsg_rtn_b32 s0, sendmsg(MSG_RTN_GET_DOORBELL)
	s_mov_b32 ttmp2, m0
	s_waitcnt lgkmcnt(0)
	s_and_b32 s0, s0, 0x3ff
	s_delay_alu instid0(SALU_CYCLE_1) | instskip(NEXT) | instid1(SALU_CYCLE_1)
	s_bitset1_b32 s0, 10
	s_mov_b32 m0, s0
	s_sendmsg sendmsg(MSG_INTERRUPT)
	s_mov_b32 m0, ttmp2
.LBB0_1079:                             ; =>This Inner Loop Header: Depth=1
	s_sethalt 5
	s_branch .LBB0_1079
.LBB0_1080:
	s_trap 2
	s_sendmsg_rtn_b32 s0, sendmsg(MSG_RTN_GET_DOORBELL)
	s_mov_b32 ttmp2, m0
	s_waitcnt lgkmcnt(0)
	s_and_b32 s0, s0, 0x3ff
	s_delay_alu instid0(SALU_CYCLE_1) | instskip(NEXT) | instid1(SALU_CYCLE_1)
	s_bitset1_b32 s0, 10
	s_mov_b32 m0, s0
	s_sendmsg sendmsg(MSG_INTERRUPT)
	s_mov_b32 m0, ttmp2
.LBB0_1081:                             ; =>This Inner Loop Header: Depth=1
	s_sethalt 5
	s_branch .LBB0_1081
.LBB0_1082:
	s_trap 2
	s_sendmsg_rtn_b32 s0, sendmsg(MSG_RTN_GET_DOORBELL)
	s_mov_b32 ttmp2, m0
	s_waitcnt lgkmcnt(0)
	s_and_b32 s0, s0, 0x3ff
	s_delay_alu instid0(SALU_CYCLE_1) | instskip(NEXT) | instid1(SALU_CYCLE_1)
	s_bitset1_b32 s0, 10
	s_mov_b32 m0, s0
	s_sendmsg sendmsg(MSG_INTERRUPT)
	s_mov_b32 m0, ttmp2
.LBB0_1083:                             ; =>This Inner Loop Header: Depth=1
	s_sethalt 5
	s_branch .LBB0_1083
.LBB0_1084:
	s_trap 2
	s_sendmsg_rtn_b32 s0, sendmsg(MSG_RTN_GET_DOORBELL)
	s_mov_b32 ttmp2, m0
	s_waitcnt lgkmcnt(0)
	s_and_b32 s0, s0, 0x3ff
	s_delay_alu instid0(SALU_CYCLE_1) | instskip(NEXT) | instid1(SALU_CYCLE_1)
	s_bitset1_b32 s0, 10
	s_mov_b32 m0, s0
	s_sendmsg sendmsg(MSG_INTERRUPT)
	s_mov_b32 m0, ttmp2
.LBB0_1085:                             ; =>This Inner Loop Header: Depth=1
	s_sethalt 5
	s_branch .LBB0_1085
.LBB0_1086:
	s_trap 2
	s_sendmsg_rtn_b32 s0, sendmsg(MSG_RTN_GET_DOORBELL)
	s_mov_b32 ttmp2, m0
	s_waitcnt lgkmcnt(0)
	s_and_b32 s0, s0, 0x3ff
	s_delay_alu instid0(SALU_CYCLE_1) | instskip(NEXT) | instid1(SALU_CYCLE_1)
	s_bitset1_b32 s0, 10
	s_mov_b32 m0, s0
	s_sendmsg sendmsg(MSG_INTERRUPT)
	s_mov_b32 m0, ttmp2
.LBB0_1087:                             ; =>This Inner Loop Header: Depth=1
	s_sethalt 5
	s_branch .LBB0_1087
.LBB0_1088:
	s_trap 2
	s_sendmsg_rtn_b32 s0, sendmsg(MSG_RTN_GET_DOORBELL)
	s_mov_b32 ttmp2, m0
	s_waitcnt lgkmcnt(0)
	s_and_b32 s0, s0, 0x3ff
	s_delay_alu instid0(SALU_CYCLE_1) | instskip(NEXT) | instid1(SALU_CYCLE_1)
	s_bitset1_b32 s0, 10
	s_mov_b32 m0, s0
	s_sendmsg sendmsg(MSG_INTERRUPT)
	s_mov_b32 m0, ttmp2
.LBB0_1089:                             ; =>This Inner Loop Header: Depth=1
	s_sethalt 5
	s_branch .LBB0_1089
.LBB0_1090:
	s_trap 2
	s_sendmsg_rtn_b32 s0, sendmsg(MSG_RTN_GET_DOORBELL)
	s_mov_b32 ttmp2, m0
	s_waitcnt lgkmcnt(0)
	s_and_b32 s0, s0, 0x3ff
	s_delay_alu instid0(SALU_CYCLE_1) | instskip(NEXT) | instid1(SALU_CYCLE_1)
	s_bitset1_b32 s0, 10
	s_mov_b32 m0, s0
	s_sendmsg sendmsg(MSG_INTERRUPT)
	s_mov_b32 m0, ttmp2
.LBB0_1091:                             ; =>This Inner Loop Header: Depth=1
	s_sethalt 5
	s_branch .LBB0_1091
.LBB0_1092:
	s_trap 2
	s_sendmsg_rtn_b32 s0, sendmsg(MSG_RTN_GET_DOORBELL)
	s_mov_b32 ttmp2, m0
	s_waitcnt lgkmcnt(0)
	s_and_b32 s0, s0, 0x3ff
	s_delay_alu instid0(SALU_CYCLE_1) | instskip(NEXT) | instid1(SALU_CYCLE_1)
	s_bitset1_b32 s0, 10
	s_mov_b32 m0, s0
	s_sendmsg sendmsg(MSG_INTERRUPT)
	s_mov_b32 m0, ttmp2
.LBB0_1093:                             ; =>This Inner Loop Header: Depth=1
	s_sethalt 5
	s_branch .LBB0_1093
.LBB0_1094:
	s_or_b32 exec_lo, exec_lo, s4
	s_and_saveexec_b32 s4, s5
	s_delay_alu instid0(SALU_CYCLE_1)
	s_xor_b32 s4, exec_lo, s4
	s_cbranch_execz .LBB0_1096
; %bb.1095:
	v_mov_b32_e32 v0, 1
	ds_store_b32 v0, v0
	s_cbranch_execnz .LBB0_1103
.LBB0_1096:
	s_or_b32 exec_lo, exec_lo, s3
	;;#ASMSTART
	s_wakeup
	;;#ASMEND
.LBB0_1097:
	s_or_b32 exec_lo, exec_lo, s2
.LBB0_1098:
	s_and_not1_saveexec_b32 s1, s1
	s_cbranch_execz .LBB0_1100
; %bb.1099:
	s_waitcnt vmcnt(0) lgkmcnt(0)
	s_waitcnt_vscnt null, 0x0
	buffer_gl1_inv
	buffer_gl0_inv
	s_barrier
.LBB0_1100:
	s_or_b32 exec_lo, exec_lo, s0
	s_waitcnt vmcnt(0) lgkmcnt(0)
	s_setpc_b64 s[30:31]
.LBB0_1101:
	s_trap 2
	s_sendmsg_rtn_b32 s0, sendmsg(MSG_RTN_GET_DOORBELL)
	s_mov_b32 ttmp2, m0
	s_waitcnt lgkmcnt(0)
	s_and_b32 s0, s0, 0x3ff
	s_delay_alu instid0(SALU_CYCLE_1) | instskip(NEXT) | instid1(SALU_CYCLE_1)
	s_bitset1_b32 s0, 10
	s_mov_b32 m0, s0
	s_sendmsg sendmsg(MSG_INTERRUPT)
	s_mov_b32 m0, ttmp2
.LBB0_1102:                             ; =>This Inner Loop Header: Depth=1
	s_sethalt 5
	s_branch .LBB0_1102
.LBB0_1103:
	s_trap 2
	s_sendmsg_rtn_b32 s0, sendmsg(MSG_RTN_GET_DOORBELL)
	s_mov_b32 ttmp2, m0
	s_waitcnt lgkmcnt(0)
	s_and_b32 s0, s0, 0x3ff
	s_delay_alu instid0(SALU_CYCLE_1) | instskip(NEXT) | instid1(SALU_CYCLE_1)
	s_bitset1_b32 s0, 10
	s_mov_b32 m0, s0
	s_sendmsg sendmsg(MSG_INTERRUPT)
	s_mov_b32 m0, ttmp2
.LBB0_1104:                             ; =>This Inner Loop Header: Depth=1
	s_sethalt 5
	s_branch .LBB0_1104
.LBB0_1105:
	s_trap 2
	s_sendmsg_rtn_b32 s0, sendmsg(MSG_RTN_GET_DOORBELL)
	s_mov_b32 ttmp2, m0
	s_waitcnt lgkmcnt(0)
	s_and_b32 s0, s0, 0x3ff
	s_delay_alu instid0(SALU_CYCLE_1) | instskip(NEXT) | instid1(SALU_CYCLE_1)
	s_bitset1_b32 s0, 10
	s_mov_b32 m0, s0
	s_sendmsg sendmsg(MSG_INTERRUPT)
	s_mov_b32 m0, ttmp2
.LBB0_1106:                             ; =>This Inner Loop Header: Depth=1
	s_sethalt 5
	s_branch .LBB0_1106
.LBB0_1107:
	s_trap 2
	s_sendmsg_rtn_b32 s0, sendmsg(MSG_RTN_GET_DOORBELL)
	s_mov_b32 ttmp2, m0
	s_waitcnt lgkmcnt(0)
	s_and_b32 s0, s0, 0x3ff
	s_delay_alu instid0(SALU_CYCLE_1) | instskip(NEXT) | instid1(SALU_CYCLE_1)
	s_bitset1_b32 s0, 10
	s_mov_b32 m0, s0
	s_sendmsg sendmsg(MSG_INTERRUPT)
	s_mov_b32 m0, ttmp2
.LBB0_1108:                             ; =>This Inner Loop Header: Depth=1
	s_sethalt 5
	s_branch .LBB0_1108
.LBB0_1109:
	s_trap 2
	s_sendmsg_rtn_b32 s0, sendmsg(MSG_RTN_GET_DOORBELL)
	s_mov_b32 ttmp2, m0
	s_waitcnt lgkmcnt(0)
	s_and_b32 s0, s0, 0x3ff
	s_delay_alu instid0(SALU_CYCLE_1) | instskip(NEXT) | instid1(SALU_CYCLE_1)
	s_bitset1_b32 s0, 10
	s_mov_b32 m0, s0
	s_sendmsg sendmsg(MSG_INTERRUPT)
	s_mov_b32 m0, ttmp2
.LBB0_1110:                             ; =>This Inner Loop Header: Depth=1
	s_sethalt 5
	s_branch .LBB0_1110
.Lfunc_end0:
	.size	_ZN12_GLOBAL__N_17runRingI11rccl_float813FuncPreMulSumIS1_E7ProtoLLLi0ELi1ELi0EEEviiP15ncclDevWorkColl, .Lfunc_end0-_ZN12_GLOBAL__N_17runRingI11rccl_float813FuncPreMulSumIS1_E7ProtoLLLi0ELi1ELi0EEEviiP15ncclDevWorkColl
                                        ; -- End function
	.section	.AMDGPU.csdata,"",@progbits
; Function info:
; codeLenInByte = 43064
; NumSgprs: 34
; NumVgprs: 168
; ScratchSize: 0
; MemoryBound: 0
	.text
	.p2align	2                               ; -- Begin function _Z56ncclDevFunc_ReduceScatter_RING_LL_PreMulSum_f8e4m3_0_0_1v
	.type	_Z56ncclDevFunc_ReduceScatter_RING_LL_PreMulSum_f8e4m3_0_0_1v,@function
_Z56ncclDevFunc_ReduceScatter_RING_LL_PreMulSum_f8e4m3_0_0_1v: ; @_Z56ncclDevFunc_ReduceScatter_RING_LL_PreMulSum_f8e4m3_0_0_1v
; %bb.0:
	s_waitcnt vmcnt(0) expcnt(0) lgkmcnt(0)
	s_mov_b32 s0, s33
	s_mov_b32 s33, s32
	s_or_saveexec_b32 s1, -1
	scratch_store_b32 off, v40, s33         ; 4-byte Folded Spill
	s_mov_b32 exec_lo, s1
	v_writelane_b32 v40, s0, 5
	s_add_i32 s32, s32, 16
	v_writelane_b32 v40, s34, 0
	v_writelane_b32 v40, s35, 1
	;; [unrolled: 1-line block ×5, first 2 shown]
	s_cbranch_execnz .LBB1_7
; %bb.1:
	ds_load_b32 v0, v0
	v_and_b32_e32 v176, 0x3ff, v31
	s_mov_b32 s0, exec_lo
	s_waitcnt lgkmcnt(0)
	s_delay_alu instid0(VALU_DEP_1)
	v_cmpx_lt_i32_e64 v176, v0
	s_cbranch_execz .LBB1_9
; %bb.2:
	s_load_b32 s1, s[8:9], 0x0
	v_mov_b32_e32 v1, 0
	s_waitcnt lgkmcnt(0)
	s_cmp_lt_u32 s12, s1
	s_cselect_b32 s1, 12, 18
	s_delay_alu instid0(SALU_CYCLE_1)
	s_add_u32 s2, s8, s1
	s_addc_u32 s3, s9, 0
	s_mov_b32 s1, 0
	global_load_u16 v1, v1, s[2:3]
	s_cbranch_execnz .LBB1_24
; %bb.3:
	ds_load_b32 v2, v0
	v_mov_b32_e32 v3, v176
	s_mov_b32 s2, 0
                                        ; implicit-def: $vgpr4
	s_waitcnt vmcnt(0) lgkmcnt(0)
	v_mul_lo_u32 v2, v2, v1
	s_branch .LBB1_5
	.p2align	6
.LBB1_4:                                ;   in Loop: Header=BB1_5 Depth=1
	s_or_b32 exec_lo, exec_lo, s3
	v_add_nc_u32_e32 v3, v3, v1
	v_add_nc_u32_e32 v4, v4, v2
	s_delay_alu instid0(VALU_DEP_2) | instskip(SKIP_1) | instid1(SALU_CYCLE_1)
	v_cmp_ge_i32_e32 vcc_lo, v3, v0
	s_or_b32 s1, vcc_lo, s1
	s_and_not1_b32 exec_lo, exec_lo, s1
	s_cbranch_execz .LBB1_9
.LBB1_5:                                ; =>This Inner Loop Header: Depth=1
	ds_load_b32 v5, v4
	s_mov_b32 s3, exec_lo
	s_waitcnt lgkmcnt(0)
	v_and_b32_e32 v5, 0x1000000, v5
	s_delay_alu instid0(VALU_DEP_1)
	v_cmpx_ne_u32_e32 0, v5
	s_cbranch_execz .LBB1_4
; %bb.6:                                ;   in Loop: Header=BB1_5 Depth=1
	ds_load_b64 v[5:6], v4 offset:104
	s_waitcnt lgkmcnt(0)
	flat_load_u8 v5, v[5:6]
	s_waitcnt vmcnt(0) lgkmcnt(0)
	v_dual_mov_b32 v6, s2 :: v_dual_and_b32 v5, 0xffff, v5
	ds_store_b64 v4, v[5:6] offset:104
	s_branch .LBB1_4
.LBB1_7:
	s_trap 2
	s_sendmsg_rtn_b32 s0, sendmsg(MSG_RTN_GET_DOORBELL)
	s_mov_b32 ttmp2, m0
	s_waitcnt lgkmcnt(0)
	s_and_b32 s0, s0, 0x3ff
	s_delay_alu instid0(SALU_CYCLE_1) | instskip(NEXT) | instid1(SALU_CYCLE_1)
	s_bitset1_b32 s0, 10
	s_mov_b32 m0, s0
	s_sendmsg sendmsg(MSG_INTERRUPT)
	s_mov_b32 m0, ttmp2
.LBB1_8:                                ; =>This Inner Loop Header: Depth=1
	s_sethalt 5
	s_branch .LBB1_8
.LBB1_9:
	s_or_b32 exec_lo, exec_lo, s0
	s_waitcnt lgkmcnt(0)
	s_waitcnt_vscnt null, 0x0
	s_barrier
	buffer_gl0_inv
	s_cbranch_execnz .LBB1_22
; %bb.10:
	ds_load_b32 v0, v0
	s_waitcnt lgkmcnt(0)
	v_cmp_gt_i32_e32 vcc_lo, 1, v0
	s_cbranch_vccnz .LBB1_21
; %bb.11:
	s_mov_b32 s36, 0
	s_mov_b64 s[34:35], src_shared_base
.LBB1_12:                               ; =>This Inner Loop Header: Depth=1
	s_cbranch_execnz .LBB1_26
; %bb.13:                               ;   in Loop: Header=BB1_12 Depth=1
	ds_load_b32 v0, v0
	s_cmp_eq_u32 s36, 0
	s_cbranch_scc1 .LBB1_17
; %bb.14:                               ;   in Loop: Header=BB1_12 Depth=1
	s_cbranch_execnz .LBB1_30
; %bb.15:                               ;   in Loop: Header=BB1_12 Depth=1
	s_waitcnt lgkmcnt(0)
	ds_load_b32 v1, v0
	s_waitcnt lgkmcnt(0)
	v_xor_b32_e32 v1, v1, v0
	s_delay_alu instid0(VALU_DEP_1) | instskip(NEXT) | instid1(VALU_DEP_1)
	v_and_b32_e32 v1, 0xff0000, v1
	v_cmp_eq_u32_e32 vcc_lo, 0, v1
	s_cbranch_vccnz .LBB1_17
; %bb.16:                               ;   in Loop: Header=BB1_12 Depth=1
	s_waitcnt_vscnt null, 0x0
	s_barrier
	buffer_gl0_inv
	ds_load_b32 v0, v0
.LBB1_17:                               ;   in Loop: Header=BB1_12 Depth=1
	s_waitcnt lgkmcnt(0)
	v_lshrrev_b32_e32 v0, 11, v0
	s_mov_b32 s34, exec_lo
	s_delay_alu instid0(VALU_DEP_1) | instskip(NEXT) | instid1(VALU_DEP_1)
	v_and_b32_e32 v1, 0x1fe0, v0
	v_cmpx_lt_u32_e64 v176, v1
	s_cbranch_execz .LBB1_19
; %bb.18:                               ;   in Loop: Header=BB1_12 Depth=1
	v_dual_mov_b32 v0, v176 :: v_dual_mov_b32 v3, s35
	s_getpc_b64 s[0:1]
	s_add_u32 s0, s0, _ZN12_GLOBAL__N_17runRingI11rccl_float813FuncPreMulSumIS1_E7ProtoLLLi0ELi1ELi0EEEviiP15ncclDevWorkColl@rel32@lo+4
	s_addc_u32 s1, s1, _ZN12_GLOBAL__N_17runRingI11rccl_float813FuncPreMulSumIS1_E7ProtoLLLi0ELi1ELi0EEEviiP15ncclDevWorkColl@rel32@hi+12
	s_mov_b64 s[28:29], s[8:9]
	s_mov_b32 s27, s12
	s_swappc_b64 s[30:31], s[0:1]
	s_mov_b32 s12, s27
	s_mov_b64 s[8:9], s[28:29]
.LBB1_19:                               ;   in Loop: Header=BB1_12 Depth=1
	s_or_b32 exec_lo, exec_lo, s34
	s_cbranch_execnz .LBB1_28
; %bb.20:                               ;   in Loop: Header=BB1_12 Depth=1
	ds_load_b32 v0, v0
	s_add_i32 s36, s36, 1
	s_waitcnt lgkmcnt(0)
	v_cmp_lt_i32_e32 vcc_lo, s36, v0
	s_cbranch_vccnz .LBB1_12
.LBB1_21:
	v_readlane_b32 s30, v40, 3
	v_readlane_b32 s31, v40, 4
	;; [unrolled: 1-line block ×6, first 2 shown]
	s_or_saveexec_b32 s1, -1
	scratch_load_b32 v40, off, s33          ; 4-byte Folded Reload
	s_mov_b32 exec_lo, s1
	s_add_i32 s32, s32, -16
	s_mov_b32 s33, s0
	s_waitcnt vmcnt(0)
	s_setpc_b64 s[30:31]
.LBB1_22:
	s_trap 2
	s_sendmsg_rtn_b32 s0, sendmsg(MSG_RTN_GET_DOORBELL)
	s_mov_b32 ttmp2, m0
	s_waitcnt lgkmcnt(0)
	s_and_b32 s0, s0, 0x3ff
	s_delay_alu instid0(SALU_CYCLE_1) | instskip(NEXT) | instid1(SALU_CYCLE_1)
	s_bitset1_b32 s0, 10
	s_mov_b32 m0, s0
	s_sendmsg sendmsg(MSG_INTERRUPT)
	s_mov_b32 m0, ttmp2
.LBB1_23:                               ; =>This Inner Loop Header: Depth=1
	s_sethalt 5
	s_branch .LBB1_23
.LBB1_24:
	s_trap 2
	s_sendmsg_rtn_b32 s0, sendmsg(MSG_RTN_GET_DOORBELL)
	s_mov_b32 ttmp2, m0
	s_waitcnt lgkmcnt(0)
	s_and_b32 s0, s0, 0x3ff
	s_delay_alu instid0(SALU_CYCLE_1) | instskip(NEXT) | instid1(SALU_CYCLE_1)
	s_bitset1_b32 s0, 10
	s_mov_b32 m0, s0
	s_sendmsg sendmsg(MSG_INTERRUPT)
	s_mov_b32 m0, ttmp2
.LBB1_25:                               ; =>This Inner Loop Header: Depth=1
	s_sethalt 5
	s_branch .LBB1_25
.LBB1_26:
	s_trap 2
	s_sendmsg_rtn_b32 s0, sendmsg(MSG_RTN_GET_DOORBELL)
	s_mov_b32 ttmp2, m0
	s_waitcnt lgkmcnt(0)
	s_and_b32 s0, s0, 0x3ff
	s_delay_alu instid0(SALU_CYCLE_1) | instskip(NEXT) | instid1(SALU_CYCLE_1)
	s_bitset1_b32 s0, 10
	s_mov_b32 m0, s0
	s_sendmsg sendmsg(MSG_INTERRUPT)
	s_mov_b32 m0, ttmp2
.LBB1_27:                               ; =>This Inner Loop Header: Depth=1
	s_sethalt 5
	s_branch .LBB1_27
.LBB1_28:
	s_trap 2
	s_sendmsg_rtn_b32 s0, sendmsg(MSG_RTN_GET_DOORBELL)
	s_mov_b32 ttmp2, m0
	s_waitcnt lgkmcnt(0)
	s_and_b32 s0, s0, 0x3ff
	s_delay_alu instid0(SALU_CYCLE_1) | instskip(NEXT) | instid1(SALU_CYCLE_1)
	s_bitset1_b32 s0, 10
	s_mov_b32 m0, s0
	s_sendmsg sendmsg(MSG_INTERRUPT)
	s_mov_b32 m0, ttmp2
.LBB1_29:                               ; =>This Inner Loop Header: Depth=1
	s_sethalt 5
	s_branch .LBB1_29
.LBB1_30:
	s_trap 2
	s_sendmsg_rtn_b32 s0, sendmsg(MSG_RTN_GET_DOORBELL)
	s_mov_b32 ttmp2, m0
	s_waitcnt lgkmcnt(0)
	s_and_b32 s0, s0, 0x3ff
	s_delay_alu instid0(SALU_CYCLE_1) | instskip(NEXT) | instid1(SALU_CYCLE_1)
	s_bitset1_b32 s0, 10
	s_mov_b32 m0, s0
	s_sendmsg sendmsg(MSG_INTERRUPT)
	s_mov_b32 m0, ttmp2
.LBB1_31:                               ; =>This Inner Loop Header: Depth=1
	s_sethalt 5
	s_branch .LBB1_31
.Lfunc_end1:
	.size	_Z56ncclDevFunc_ReduceScatter_RING_LL_PreMulSum_f8e4m3_0_0_1v, .Lfunc_end1-_Z56ncclDevFunc_ReduceScatter_RING_LL_PreMulSum_f8e4m3_0_0_1v
                                        ; -- End function
	.section	.AMDGPU.csdata,"",@progbits
; Function info:
; codeLenInByte = 976
; NumSgprs: 39
; NumVgprs: 177
; ScratchSize: 16
; MemoryBound: 0
	.text
	.p2align	2                               ; -- Begin function _ZN12_GLOBAL__N_17runRingI11rccl_float813FuncPreMulSumIS1_E7ProtoLLLi0ELi2ELi0EEEviiP15ncclDevWorkColl
	.type	_ZN12_GLOBAL__N_17runRingI11rccl_float813FuncPreMulSumIS1_E7ProtoLLLi0ELi2ELi0EEEviiP15ncclDevWorkColl,@function
_ZN12_GLOBAL__N_17runRingI11rccl_float813FuncPreMulSumIS1_E7ProtoLLLi0ELi2ELi0EEEviiP15ncclDevWorkColl: ; @_ZN12_GLOBAL__N_17runRingI11rccl_float813FuncPreMulSumIS1_E7ProtoLLLi0ELi2ELi0EEEviiP15ncclDevWorkColl
; %bb.0:
	s_waitcnt vmcnt(0) expcnt(0) lgkmcnt(0)
	s_cbranch_execnz .LBB2_19
; %bb.1:
	v_mov_b32_e32 v4, v0
	s_clause 0x2
	flat_load_b32 v0, v[2:3]
	flat_load_b128 v[5:8], v[2:3] offset:72
	flat_load_b64 v[17:18], v[2:3] offset:88
	s_mov_b32 s0, exec_lo
                                        ; implicit-def: $vgpr25_vgpr26
	s_waitcnt vmcnt(2) lgkmcnt(2)
	v_and_b32_e32 v11, 0xff, v0
	v_bfe_u32 v10, v0, 8, 8
	s_delay_alu instid0(VALU_DEP_2) | instskip(SKIP_3) | instid1(VALU_DEP_1)
	v_not_b32_e32 v0, v11
	ds_load_b32 v9, v0
	ds_load_b64 v[23:24], v0
	v_add_nc_u32_e32 v12, v10, v0
	v_ashrrev_i32_e32 v13, 31, v12
	s_waitcnt vmcnt(1) lgkmcnt(3)
	v_mul_lo_u32 v14, v8, v12
	v_mad_u64_u32 v[19:20], null, v7, v12, 0
	s_delay_alu instid0(VALU_DEP_3) | instskip(NEXT) | instid1(VALU_DEP_1)
	v_mul_lo_u32 v12, v7, v13
	v_add3_u32 v54, v20, v12, v14
	s_waitcnt lgkmcnt(1)
	v_readfirstlane_b32 s10, v9
                                        ; implicit-def: $vgpr20_vgpr21
	v_cmpx_ne_u32_e64 v11, v9
	s_xor_b32 s0, exec_lo, s0
	s_cbranch_execz .LBB2_7
; %bb.2:
	s_mov_b32 s1, exec_lo
                                        ; implicit-def: $vgpr20_vgpr21
                                        ; implicit-def: $vgpr25_vgpr26
	v_cmpx_ne_u32_e64 v10, v9
	s_xor_b32 s1, exec_lo, s1
	s_cbranch_execz .LBB2_4
; %bb.3:
	flat_load_b64 v[10:11], v[2:3] offset:96
	v_add_nc_u32_e32 v0, v9, v0
	s_delay_alu instid0(VALU_DEP_1) | instskip(SKIP_2) | instid1(VALU_DEP_3)
	v_ashrrev_i32_e32 v9, 31, v0
	v_mul_lo_u32 v12, v8, v0
	v_mad_u64_u32 v[25:26], null, v7, v0, v[5:6]
	v_mul_lo_u32 v9, v7, v9
	s_delay_alu instid0(VALU_DEP_1)
	v_add3_u32 v26, v12, v26, v9
	s_waitcnt vmcnt(0) lgkmcnt(0)
	v_lshrrev_b64 v[20:21], 17, v[10:11]
.LBB2_4:
	s_and_not1_saveexec_b32 s1, s1
	s_cbranch_execz .LBB2_6
; %bb.5:
	flat_load_b32 v0, v[2:3] offset:100
	v_add_co_u32 v25, vcc_lo, v19, v5
	v_add_co_ci_u32_e32 v26, vcc_lo, v54, v6, vcc_lo
	s_waitcnt vmcnt(1)
	v_dual_mov_b32 v7, v17 :: v_dual_mov_b32 v8, v18
	s_waitcnt vmcnt(0) lgkmcnt(0)
	v_lshrrev_b32_e32 v20, 6, v0
.LBB2_6:
	s_or_b32 exec_lo, exec_lo, s1
.LBB2_7:
	s_and_not1_saveexec_b32 s0, s0
	s_cbranch_execz .LBB2_9
; %bb.8:
	flat_load_b64 v[7:8], v[2:3] offset:96
	v_mov_b32_e32 v25, 0
	v_mov_b32_e32 v26, 0
	s_waitcnt vmcnt(0) lgkmcnt(0)
	v_lshlrev_b64 v[20:21], 4, v[7:8]
	v_dual_mov_b32 v8, v6 :: v_dual_mov_b32 v7, v5
.LBB2_9:
	s_or_b32 exec_lo, exec_lo, s0
	s_clause 0x3
	flat_load_b64 v[15:16], v[2:3] offset:104
	flat_load_b128 v[9:12], v[2:3] offset:16
	flat_load_u16 v14, v[2:3] offset:8
	flat_load_b32 v13, v[2:3] offset:4
	s_mov_b32 s0, 0
	s_mov_b32 s2, exec_lo
                                        ; implicit-def: $sgpr1
	s_waitcnt vmcnt(3) lgkmcnt(3)
	v_and_b32_e32 v2, 0xff, v15
	s_delay_alu instid0(VALU_DEP_1)
	v_cmpx_lt_i16_e32 0x7f, v2
	s_xor_b32 s2, exec_lo, s2
	s_cbranch_execnz .LBB2_21
; %bb.10:
	s_or_saveexec_b32 s2, s2
	v_mov_b32_e32 v0, s1
	s_xor_b32 exec_lo, exec_lo, s2
	s_cbranch_execnz .LBB2_24
.LBB2_11:
	s_or_b32 exec_lo, exec_lo, s2
	s_and_saveexec_b32 s1, s0
	s_cbranch_execz .LBB2_13
.LBB2_12:
	v_and_b32_e32 v0, 7, v15
	v_bfe_u32 v16, v15, 3, 4
	s_delay_alu instid0(VALU_DEP_2) | instskip(NEXT) | instid1(VALU_DEP_2)
	v_clz_i32_u32_e32 v2, v0
	v_cmp_eq_u32_e32 vcc_lo, 0, v16
	s_delay_alu instid0(VALU_DEP_2) | instskip(NEXT) | instid1(VALU_DEP_1)
	v_min_u32_e32 v2, 32, v2
	v_subrev_nc_u32_e32 v3, 28, v2
	v_sub_nc_u32_e32 v2, 29, v2
	s_delay_alu instid0(VALU_DEP_1) | instskip(SKIP_1) | instid1(VALU_DEP_2)
	v_dual_cndmask_b32 v2, v16, v2 :: v_dual_lshlrev_b32 v3, v3, v15
	v_lshlrev_b32_e32 v15, 24, v15
	v_and_b32_e32 v3, 7, v3
	s_delay_alu instid0(VALU_DEP_3) | instskip(NEXT) | instid1(VALU_DEP_2)
	v_lshl_add_u32 v2, v2, 23, 0x3b800000
	v_cndmask_b32_e32 v0, v0, v3, vcc_lo
	s_delay_alu instid0(VALU_DEP_4) | instskip(NEXT) | instid1(VALU_DEP_2)
	v_and_b32_e32 v3, 0x80000000, v15
	v_lshlrev_b32_e32 v0, 20, v0
	s_delay_alu instid0(VALU_DEP_1)
	v_or3_b32 v0, v3, v2, v0
.LBB2_13:
	s_or_b32 exec_lo, exec_lo, s1
	s_load_b32 s0, s[8:9], 0x0
	v_mov_b32_e32 v2, 0
	s_mov_b32 s2, 0
	s_waitcnt lgkmcnt(0)
	s_cmp_lt_u32 s12, s0
	s_cselect_b32 s0, 12, 18
	s_delay_alu instid0(SALU_CYCLE_1)
	s_add_u32 s0, s8, s0
	s_addc_u32 s1, s9, 0
	global_load_u16 v55, v2, s[0:1]
	s_cbranch_execnz .LBB2_25
; %bb.14:
	ds_load_b32 v2, v0
	s_waitcnt vmcnt(1)
	v_lshrrev_b64 v[13:14], 31, v[13:14]
	s_delay_alu instid0(VALU_DEP_1)
	v_and_b32_e32 v14, 3, v13
	v_and_b32_e32 v13, 31, v4
	s_waitcnt lgkmcnt(0)
	v_cmp_gt_i32_e32 vcc_lo, 0, v2
	v_readfirstlane_b32 s1, v2
	s_cbranch_vccnz .LBB2_27
; %bb.15:
	v_cmp_eq_u32_e32 vcc_lo, 0, v13
	s_cbranch_execnz .LBB2_31
; %bb.16:
	ds_load_b64 v[15:16], v0
	v_mov_b32_e32 v3, 0
	v_and_b32_e32 v21, 0xffff, v14
	s_mov_b32 s2, 1
	s_delay_alu instid0(VALU_DEP_2) | instskip(SKIP_1) | instid1(VALU_DEP_1)
	v_lshlrev_b64 v[2:3], 3, v[2:3]
	s_waitcnt lgkmcnt(0)
	v_add_co_u32 v2, s0, v15, v2
	s_delay_alu instid0(VALU_DEP_1)
	v_add_co_ci_u32_e64 v3, s0, v16, v3, s0
	flat_load_b64 v[2:3], v[2:3]
	s_waitcnt vmcnt(0) lgkmcnt(0)
	v_mad_u64_u32 v[15:16], null, 0xa8, v21, v[2:3]
	s_clause 0x1
	flat_load_b64 v[29:30], v[15:16] offset:504
	flat_load_b64 v[32:33], v[15:16] offset:608
	v_add_co_u32 v2, s0, 0x1f8, v15
	s_delay_alu instid0(VALU_DEP_1) | instskip(NEXT) | instid1(VALU_DEP_1)
	v_add_co_ci_u32_e64 v3, s0, 0, v16, s0
	v_dual_cndmask_b32 v27, 0, v2 :: v_dual_cndmask_b32 v28, 0, v3
	s_cbranch_execz .LBB2_28
.LBB2_17:
	s_trap 2
	s_sendmsg_rtn_b32 s0, sendmsg(MSG_RTN_GET_DOORBELL)
	s_mov_b32 ttmp2, m0
	s_waitcnt lgkmcnt(0)
	s_and_b32 s0, s0, 0x3ff
	s_delay_alu instid0(SALU_CYCLE_1) | instskip(NEXT) | instid1(SALU_CYCLE_1)
	s_bitset1_b32 s0, 10
	s_mov_b32 m0, s0
	s_sendmsg sendmsg(MSG_INTERRUPT)
	s_mov_b32 m0, ttmp2
.LBB2_18:                               ; =>This Inner Loop Header: Depth=1
	s_sethalt 5
	s_branch .LBB2_18
.LBB2_19:
	s_trap 2
	s_sendmsg_rtn_b32 s0, sendmsg(MSG_RTN_GET_DOORBELL)
	s_mov_b32 ttmp2, m0
	s_waitcnt lgkmcnt(0)
	s_and_b32 s0, s0, 0x3ff
	s_delay_alu instid0(SALU_CYCLE_1) | instskip(NEXT) | instid1(SALU_CYCLE_1)
	s_bitset1_b32 s0, 10
	s_mov_b32 m0, s0
	s_sendmsg sendmsg(MSG_INTERRUPT)
	s_mov_b32 m0, ttmp2
.LBB2_20:                               ; =>This Inner Loop Header: Depth=1
	s_sethalt 5
	s_branch .LBB2_20
.LBB2_21:
	s_mov_b32 s0, -1
	s_mov_b32 s3, exec_lo
                                        ; implicit-def: $sgpr1
	v_cmpx_eq_u16_e32 0x80, v2
; %bb.22:
	s_mov_b32 s1, 0x7f800001
	s_xor_b32 s0, exec_lo, -1
; %bb.23:
	s_or_b32 exec_lo, exec_lo, s3
	s_delay_alu instid0(SALU_CYCLE_1)
	s_and_b32 s0, s0, exec_lo
                                        ; implicit-def: $vgpr2
	s_or_saveexec_b32 s2, s2
	v_mov_b32_e32 v0, s1
	s_xor_b32 exec_lo, exec_lo, s2
	s_cbranch_execz .LBB2_11
.LBB2_24:
	v_cmp_ne_u16_e32 vcc_lo, 0, v2
	v_mov_b32_e32 v0, 0
	s_and_not1_b32 s0, s0, exec_lo
	s_and_b32 s1, vcc_lo, exec_lo
	s_delay_alu instid0(SALU_CYCLE_1)
	s_or_b32 s0, s0, s1
	s_or_b32 exec_lo, exec_lo, s2
	s_and_saveexec_b32 s1, s0
	s_cbranch_execnz .LBB2_12
	s_branch .LBB2_13
.LBB2_25:
	s_trap 2
	s_sendmsg_rtn_b32 s0, sendmsg(MSG_RTN_GET_DOORBELL)
	s_mov_b32 ttmp2, m0
	s_waitcnt lgkmcnt(0)
	s_and_b32 s0, s0, 0x3ff
	s_delay_alu instid0(SALU_CYCLE_1) | instskip(NEXT) | instid1(SALU_CYCLE_1)
	s_bitset1_b32 s0, 10
	s_mov_b32 m0, s0
	s_sendmsg sendmsg(MSG_INTERRUPT)
	s_mov_b32 m0, ttmp2
.LBB2_26:                               ; =>This Inner Loop Header: Depth=1
	s_sethalt 5
	s_branch .LBB2_26
.LBB2_27:
	v_mov_b32_e32 v27, 0
	v_mov_b32_e32 v28, 0
                                        ; implicit-def: $vgpr32_vgpr33
                                        ; implicit-def: $vgpr29_vgpr30
	s_cbranch_execnz .LBB2_17
.LBB2_28:
	ds_load_b32 v2, v0
	v_mov_b32_e32 v36, 0
	v_mov_b32_e32 v37, 0
	s_waitcnt lgkmcnt(0)
	v_cmp_gt_i32_e32 vcc_lo, 0, v2
	s_cbranch_vccnz .LBB2_33
; %bb.29:
	s_cbranch_execnz .LBB2_1029
; %bb.30:
	ds_load_b64 v[15:16], v0
	v_mov_b32_e32 v3, 0
	s_delay_alu instid0(VALU_DEP_1) | instskip(SKIP_1) | instid1(VALU_DEP_1)
	v_lshlrev_b64 v[2:3], 3, v[2:3]
	s_waitcnt lgkmcnt(0)
	v_add_co_u32 v2, vcc_lo, v15, v2
	s_delay_alu instid0(VALU_DEP_2)
	v_add_co_ci_u32_e32 v3, vcc_lo, v16, v3, vcc_lo
	v_and_b32_e32 v16, 0xffff, v14
	v_cmp_eq_u32_e32 vcc_lo, 0, v13
	flat_load_b64 v[2:3], v[2:3]
	s_waitcnt vmcnt(0) lgkmcnt(0)
	v_mad_u64_u32 v[14:15], null, 0xa8, v16, v[2:3]
	s_clause 0x1
	flat_load_b64 v[38:39], v[14:15]
	flat_load_b64 v[21:22], v[14:15] offset:104
	v_dual_cndmask_b32 v35, 0, v15 :: v_dual_cndmask_b32 v34, 0, v14
	s_branch .LBB2_34
.LBB2_31:
	s_trap 2
	s_sendmsg_rtn_b32 s0, sendmsg(MSG_RTN_GET_DOORBELL)
	s_mov_b32 ttmp2, m0
	s_waitcnt lgkmcnt(0)
	s_and_b32 s0, s0, 0x3ff
	s_delay_alu instid0(SALU_CYCLE_1) | instskip(NEXT) | instid1(SALU_CYCLE_1)
	s_bitset1_b32 s0, 10
	s_mov_b32 m0, s0
	s_sendmsg sendmsg(MSG_INTERRUPT)
	s_mov_b32 m0, ttmp2
.LBB2_32:                               ; =>This Inner Loop Header: Depth=1
	s_sethalt 5
	s_branch .LBB2_32
.LBB2_33:
	s_delay_alu instid0(VALU_DEP_2)
	v_dual_mov_b32 v34, v36 :: v_dual_mov_b32 v35, v37
                                        ; implicit-def: $vgpr21_vgpr22
                                        ; implicit-def: $vgpr38_vgpr39
.LBB2_34:
	v_subrev_nc_u32_e32 v2, 32, v1
	v_cmp_gt_u32_e64 s0, s2, v13
                                        ; implicit-def: $vgpr48_vgpr49
	s_delay_alu instid0(VALU_DEP_2) | instskip(NEXT) | instid1(VALU_DEP_2)
	v_cmp_le_i32_e32 vcc_lo, v2, v4
	s_and_b32 s12, vcc_lo, s0
	s_delay_alu instid0(SALU_CYCLE_1)
	s_and_saveexec_b32 s0, s12
; %bb.35:
	s_clause 0x1
	flat_load_b64 v[36:37], v[27:28] offset:56
	flat_load_b64 v[48:49], v[27:28] offset:104
; %bb.36:
	s_or_b32 exec_lo, exec_lo, s0
	v_mov_b32_e32 v2, 0
	v_mov_b32_e32 v3, 0
	v_cmp_gt_i32_e64 s0, s2, v4
                                        ; implicit-def: $vgpr52_vgpr53
	s_delay_alu instid0(VALU_DEP_2) | instskip(SKIP_1) | instid1(VALU_DEP_3)
	v_dual_mov_b32 v14, v3 :: v_dual_mov_b32 v13, v2
	v_dual_mov_b32 v51, v3 :: v_dual_mov_b32 v50, v2
	s_and_saveexec_b32 s2, s0
	s_cbranch_execz .LBB2_38
; %bb.37:
	flat_load_b64 v[50:51], v[34:35] offset:56
	s_waitcnt vmcnt(0) lgkmcnt(0)
	flat_load_b64 v[52:53], v[50:51] glc dlc
	s_waitcnt vmcnt(0)
	flat_load_b128 v[13:16], v[34:35] offset:96
.LBB2_38:
	s_or_b32 exec_lo, exec_lo, s2
	s_waitcnt vmcnt(0)
	v_and_b32_e32 v98, 0xffff, v55
	s_mov_b32 s13, exec_lo
	v_cmpx_ne_u64_e32 0, v[7:8]
	s_cbranch_execz .LBB2_1017
; %bb.39:
	v_add_co_u32 v2, vcc_lo, v17, v5
	s_ashr_i32 s2, s1, 31
	v_add_co_ci_u32_e32 v3, vcc_lo, v18, v6, vcc_lo
	s_lshr_b32 s2, s2, 29
	s_ashr_i32 s11, s10, 31
	v_add_co_u32 v99, vcc_lo, v2, v19
	s_add_i32 s1, s1, s2
	s_lshl_b64 s[2:3], s[10:11], 2
	v_add_co_ci_u32_e32 v100, vcc_lo, v3, v54, vcc_lo
	v_add_co_u32 v3, vcc_lo, v23, s2
	v_dual_mov_b32 v55, 0 :: v_dual_and_b32 v64, 0x1fffff0, v20
	v_add_co_ci_u32_e32 v5, vcc_lo, s3, v24, vcc_lo
	v_ashrrev_i32_e32 v2, 31, v1
	s_delay_alu instid0(VALU_DEP_4) | instskip(NEXT) | instid1(VALU_DEP_4)
	v_add_co_u32 v66, vcc_lo, v3, -4
	v_dual_mov_b32 v65, v55 :: v_dual_lshlrev_b32 v102, 3, v4
	s_delay_alu instid0(VALU_DEP_4) | instskip(SKIP_2) | instid1(VALU_DEP_4)
	v_add_co_ci_u32_e32 v67, vcc_lo, -1, v5, vcc_lo
	v_dual_mov_b32 v130, 1 :: v_dual_and_b32 v5, 31, v31
	v_lshrrev_b32_e32 v6, 27, v2
	v_ashrrev_i32_e32 v113, 31, v102
	v_add_co_u32 v115, vcc_lo, v11, v102
	s_delay_alu instid0(VALU_DEP_4) | instskip(SKIP_4) | instid1(VALU_DEP_4)
	v_cmp_eq_u32_e64 s5, 0, v5
	v_ashrrev_i32_e32 v5, 31, v4
	v_add_nc_u32_e32 v3, v1, v6
	v_add_co_ci_u32_e32 v116, vcc_lo, v12, v113, vcc_lo
	v_add_co_u32 v117, vcc_lo, v9, v102
	v_lshlrev_b64 v[17:18], 4, v[4:5]
	v_add_co_ci_u32_e32 v118, vcc_lo, v10, v113, vcc_lo
	v_mov_b32_e32 v9, 0
	v_mov_b32_e32 v10, 0
	v_ashrrev_i32_e32 v101, 5, v3
	v_lshlrev_b32_e32 v103, 3, v1
	v_add_co_u32 v5, vcc_lo, v115, v25
	v_add_co_ci_u32_e32 v6, vcc_lo, v116, v26, vcc_lo
	s_ashr_i32 s4, s1, 3
	s_waitcnt lgkmcnt(1)
	v_add_co_u32 v128, vcc_lo, v38, v17
	s_ashr_i32 s14, s1, 7
	v_cmp_ne_u64_e64 s1, 0, v[50:51]
	s_waitcnt lgkmcnt(0)
	v_cmp_ne_u64_e64 s2, 0, v[13:14]
	v_cmp_ne_u64_e64 s6, 0, v[36:37]
	v_lshlrev_b64 v[68:69], 4, v[1:2]
	v_mov_b32_e32 v2, v9
	s_and_b32 s11, s4, -16
	v_cmp_ne_u32_e64 s3, 32, v1
	v_cmp_ne_u32_e64 s4, v98, v1
	v_ashrrev_i32_e32 v112, 31, v101
	v_ashrrev_i32_e32 v114, 31, v103
	v_lshlrev_b32_e32 v119, 6, v1
	v_add_co_ci_u32_e32 v129, vcc_lo, v39, v18, vcc_lo
	v_mov_b32_e32 v131, 0
	v_mov_b32_e32 v3, v10
	s_cmp_gt_i32 s10, 2
	s_mov_b32 s15, 0
	s_cselect_b32 s16, -1, 0
.LBB2_40:                               ; =>This Loop Header: Depth=1
                                        ;     Child Loop BB2_47 Depth 2
                                        ;     Child Loop BB2_67 Depth 2
	;; [unrolled: 1-line block ×5, first 2 shown]
                                        ;       Child Loop BB2_228 Depth 3
                                        ;       Child Loop BB2_248 Depth 3
	;; [unrolled: 1-line block ×3, first 2 shown]
                                        ;         Child Loop BB2_274 Depth 4
                                        ;       Child Loop BB2_612 Depth 3
                                        ;       Child Loop BB2_629 Depth 3
                                        ;     Child Loop BB2_634 Depth 2
                                        ;       Child Loop BB2_642 Depth 3
                                        ;     Child Loop BB2_1000 Depth 2
	s_waitcnt vmcnt(0) lgkmcnt(0)
	flat_load_b32 v19, v[66:67]
	v_sub_co_u32 v17, vcc_lo, v7, v9
	v_sub_co_ci_u32_e32 v18, vcc_lo, v8, v10, vcc_lo
	s_delay_alu instid0(VALU_DEP_1) | instskip(SKIP_1) | instid1(VALU_DEP_1)
	v_cmp_lt_u64_e32 vcc_lo, v[64:65], v[17:18]
	v_cndmask_b32_e32 v20, v17, v64, vcc_lo
	v_lshl_add_u32 v17, v20, 1, 14
	s_delay_alu instid0(VALU_DEP_1)
	v_and_b32_e32 v133, 0x7fffff0, v17
	s_and_saveexec_b32 s7, s1
	s_cbranch_execz .LBB2_58
; %bb.41:                               ;   in Loop: Header=BB2_40 Depth=1
	v_add_co_u32 v17, vcc_lo, v15, 1
	v_add_co_ci_u32_e32 v18, vcc_lo, 0, v16, vcc_lo
	v_add_co_u32 v70, vcc_lo, v52, 8
	v_add_co_ci_u32_e32 v71, vcc_lo, 0, v53, vcc_lo
	s_mov_b32 s8, exec_lo
	s_delay_alu instid0(VALU_DEP_1)
	v_cmpx_lt_u64_e64 v[70:71], v[17:18]
	s_cbranch_execz .LBB2_55
; %bb.42:                               ;   in Loop: Header=BB2_40 Depth=1
	s_sleep 1
	flat_load_b64 v[52:53], v[50:51] glc
	v_cmp_eq_u32_e32 vcc_lo, 0, v131
	s_and_saveexec_b32 s9, vcc_lo
	s_cbranch_execz .LBB2_54
; %bb.43:                               ;   in Loop: Header=BB2_40 Depth=1
	v_cndmask_b32_e64 v16, 0, 1, vcc_lo
	s_mov_b32 s17, 0
                                        ; implicit-def: $sgpr18
	s_branch .LBB2_47
.LBB2_44:                               ;   in Loop: Header=BB2_47 Depth=2
	s_or_b32 exec_lo, exec_lo, s21
	s_delay_alu instid0(SALU_CYCLE_1)
	s_or_not1_b32 s21, s22, exec_lo
.LBB2_45:                               ;   in Loop: Header=BB2_47 Depth=2
	s_or_b32 exec_lo, exec_lo, s20
	s_xor_b32 s20, s21, -1
	s_and_not1_b32 s18, s18, exec_lo
	s_and_b32 s20, s20, exec_lo
	s_delay_alu instid0(SALU_CYCLE_1)
	s_or_b32 s18, s18, s20
.LBB2_46:                               ;   in Loop: Header=BB2_47 Depth=2
	s_or_b32 exec_lo, exec_lo, s19
	s_delay_alu instid0(SALU_CYCLE_1) | instskip(NEXT) | instid1(SALU_CYCLE_1)
	s_and_b32 s19, exec_lo, s18
	s_or_b32 s17, s19, s17
	s_delay_alu instid0(SALU_CYCLE_1)
	s_and_not1_b32 exec_lo, exec_lo, s17
	s_cbranch_execz .LBB2_53
.LBB2_47:                               ;   Parent Loop BB2_40 Depth=1
                                        ; =>  This Inner Loop Header: Depth=2
	s_waitcnt vmcnt(0) lgkmcnt(0)
	v_add_co_u32 v70, vcc_lo, v52, 8
	v_add_co_ci_u32_e32 v71, vcc_lo, 0, v53, vcc_lo
	v_mov_b32_e32 v131, 0
	s_or_b32 s18, s18, exec_lo
	s_mov_b32 s19, exec_lo
	s_delay_alu instid0(VALU_DEP_2)
	v_cmpx_lt_u64_e64 v[70:71], v[17:18]
	s_cbranch_execz .LBB2_46
; %bb.48:                               ;   in Loop: Header=BB2_47 Depth=2
	s_sleep 1
	flat_load_b64 v[52:53], v[50:51] glc
	v_dual_mov_b32 v131, 0 :: v_dual_add_nc_u32 v16, 1, v16
	s_mov_b32 s21, -1
	s_mov_b32 s20, exec_lo
	s_delay_alu instid0(VALU_DEP_1)
	v_cmpx_eq_u32_e32 0x2710, v16
	s_cbranch_execz .LBB2_45
; %bb.49:                               ;   in Loop: Header=BB2_47 Depth=2
	s_cbranch_execnz .LBB2_1035
; %bb.50:                               ;   in Loop: Header=BB2_47 Depth=2
	ds_load_b64 v[70:71], v0
	v_dual_mov_b32 v16, 0 :: v_dual_mov_b32 v131, 0
	s_mov_b32 s22, -1
	s_mov_b32 s21, exec_lo
	s_waitcnt vmcnt(0) lgkmcnt(0)
	s_waitcnt_vscnt null, 0x0
	flat_load_b32 v54, v[70:71] glc
	s_waitcnt vmcnt(0) lgkmcnt(0)
	buffer_gl1_inv
	buffer_gl0_inv
	v_cmpx_ne_u32_e32 0, v54
	s_cbranch_execz .LBB2_44
; %bb.51:                               ;   in Loop: Header=BB2_47 Depth=2
	ds_store_b32 v0, v54
	s_cbranch_execnz .LBB2_1060
; %bb.52:                               ;   in Loop: Header=BB2_47 Depth=2
	v_mov_b32_e32 v131, 1
	s_xor_b32 s22, exec_lo, -1
	s_branch .LBB2_44
.LBB2_53:                               ;   in Loop: Header=BB2_40 Depth=1
	s_or_b32 exec_lo, exec_lo, s17
.LBB2_54:                               ;   in Loop: Header=BB2_40 Depth=1
	s_delay_alu instid0(SALU_CYCLE_1)
	s_or_b32 exec_lo, exec_lo, s9
.LBB2_55:                               ;   in Loop: Header=BB2_40 Depth=1
	s_delay_alu instid0(SALU_CYCLE_1)
	s_or_b32 exec_lo, exec_lo, s8
	s_and_saveexec_b32 s8, s2
	s_cbranch_execz .LBB2_57
; %bb.56:                               ;   in Loop: Header=BB2_40 Depth=1
	v_and_b32_e32 v54, 0x7ffffff8, v15
	v_and_b32_e32 v16, 7, v15
	s_delay_alu instid0(VALU_DEP_2) | instskip(NEXT) | instid1(VALU_DEP_2)
	v_cmp_eq_u64_e32 vcc_lo, 0x7ffffff8, v[54:55]
	v_mad_u64_u32 v[70:71], null, v16, 24, v[13:14]
	v_cndmask_b32_e64 v15, v133, s11, vcc_lo
	s_delay_alu instid0(VALU_DEP_1)
	v_ashrrev_i32_e32 v16, 31, v15
	flat_store_b64 v[70:71], v[15:16] offset:8 dlc
	s_waitcnt_vscnt null, 0x0
.LBB2_57:                               ;   in Loop: Header=BB2_40 Depth=1
	s_or_b32 exec_lo, exec_lo, s8
	v_dual_mov_b32 v15, v17 :: v_dual_mov_b32 v16, v18
.LBB2_58:                               ;   in Loop: Header=BB2_40 Depth=1
	s_or_b32 exec_lo, exec_lo, s7
	s_and_saveexec_b32 s7, s3
	s_cbranch_execz .LBB2_80
; %bb.59:                               ;   in Loop: Header=BB2_40 Depth=1
	s_and_saveexec_b32 s8, s4
	s_delay_alu instid0(SALU_CYCLE_1)
	s_xor_b32 s8, exec_lo, s8
	s_cbranch_execz .LBB2_77
; %bb.60:                               ;   in Loop: Header=BB2_40 Depth=1
	s_and_saveexec_b32 s9, s5
	s_cbranch_execz .LBB2_76
; %bb.61:                               ;   in Loop: Header=BB2_40 Depth=1
	s_mov_b32 s18, exec_lo
	s_mov_b32 s17, exec_lo
	v_mbcnt_lo_u32_b32 v17, s18, 0
	s_waitcnt vmcnt(0) lgkmcnt(0)
	s_waitcnt_vscnt null, 0x0
	buffer_gl1_inv
	buffer_gl0_inv
	v_cmpx_eq_u32_e32 0, v17
	s_cbranch_execz .LBB2_63
; %bb.62:                               ;   in Loop: Header=BB2_40 Depth=1
	s_bcnt1_i32_b32 s18, s18
	s_delay_alu instid0(SALU_CYCLE_1)
	v_mov_b32_e32 v54, s18
	ds_add_u64 v0, v[54:55]
	s_cbranch_execnz .LBB2_1054
.LBB2_63:                               ;   in Loop: Header=BB2_40 Depth=1
	s_or_b32 exec_lo, exec_lo, s17
	s_cbranch_execnz .LBB2_1041
; %bb.64:                               ;   in Loop: Header=BB2_40 Depth=1
	ds_load_b64 v[17:18], v0
	v_add_co_u32 v2, vcc_lo, v2, v101
	v_add_co_ci_u32_e32 v3, vcc_lo, v3, v112, vcc_lo
	s_mov_b32 s17, exec_lo
	s_waitcnt lgkmcnt(0)
	s_delay_alu instid0(VALU_DEP_1)
	v_cmpx_lt_u64_e64 v[17:18], v[2:3]
	s_cbranch_execz .LBB2_75
; %bb.65:                               ;   in Loop: Header=BB2_40 Depth=1
	s_mov_b32 s18, 0
	s_mov_b32 s21, 0
                                        ; implicit-def: $sgpr19
                                        ; implicit-def: $sgpr20
	s_branch .LBB2_67
.LBB2_66:                               ;   in Loop: Header=BB2_67 Depth=2
	s_or_b32 exec_lo, exec_lo, s24
	s_delay_alu instid0(SALU_CYCLE_1) | instskip(NEXT) | instid1(SALU_CYCLE_1)
	s_and_b32 s22, exec_lo, s23
	s_or_b32 s18, s22, s18
	s_and_not1_b32 s19, s19, exec_lo
	s_and_b32 s22, s20, exec_lo
	s_delay_alu instid0(SALU_CYCLE_1)
	s_or_b32 s19, s19, s22
	s_and_not1_b32 exec_lo, exec_lo, s18
	s_cbranch_execz .LBB2_73
.LBB2_67:                               ;   Parent Loop BB2_40 Depth=1
                                        ; =>  This Inner Loop Header: Depth=2
	s_add_i32 s21, s21, 1
                                        ; implicit-def: $sgpr23
	s_delay_alu instid0(SALU_CYCLE_1) | instskip(SKIP_1) | instid1(SALU_CYCLE_1)
	s_cmpk_lg_i32 s21, 0x2710
	s_cselect_b32 s22, -1, 0
	s_and_b32 vcc_lo, exec_lo, s22
	s_cbranch_vccz .LBB2_71
.LBB2_68:                               ;   in Loop: Header=BB2_67 Depth=2
	s_and_not1_b32 s20, s20, exec_lo
	s_and_b32 s24, s23, exec_lo
	s_mov_b32 s23, -1
	s_or_b32 s20, s20, s24
	s_and_saveexec_b32 s24, s22
	s_cbranch_execz .LBB2_66
; %bb.69:                               ;   in Loop: Header=BB2_67 Depth=2
	s_sleep 1
	s_cbranch_execnz .LBB2_1068
; %bb.70:                               ;   in Loop: Header=BB2_67 Depth=2
	ds_load_b64 v[17:18], v0
	s_and_not1_b32 s20, s20, exec_lo
	s_waitcnt lgkmcnt(0)
	v_cmp_ge_u64_e32 vcc_lo, v[17:18], v[2:3]
	s_or_not1_b32 s23, vcc_lo, exec_lo
	s_branch .LBB2_66
.LBB2_71:                               ;   in Loop: Header=BB2_67 Depth=2
	s_cbranch_execnz .LBB2_1076
; %bb.72:                               ;   in Loop: Header=BB2_67 Depth=2
	ds_load_b64 v[17:18], v0
	s_and_not1_b32 s22, s22, exec_lo
	s_mov_b32 s21, 0
	s_mov_b32 s23, -1
	s_waitcnt lgkmcnt(0)
	flat_load_b32 v17, v[17:18] glc
	s_waitcnt vmcnt(0) lgkmcnt(0)
	buffer_gl1_inv
	buffer_gl0_inv
	v_cmp_eq_u32_e32 vcc_lo, 0, v17
	s_and_b32 s24, vcc_lo, exec_lo
	s_delay_alu instid0(SALU_CYCLE_1)
	s_or_b32 s22, s22, s24
	s_branch .LBB2_68
.LBB2_73:                               ;   in Loop: Header=BB2_40 Depth=1
	s_or_b32 exec_lo, exec_lo, s18
	s_and_saveexec_b32 s18, s19
	s_delay_alu instid0(SALU_CYCLE_1)
	s_xor_b32 s18, exec_lo, s18
	s_cbranch_execz .LBB2_75
; %bb.74:                               ;   in Loop: Header=BB2_40 Depth=1
	ds_store_b32 v0, v130
	s_cbranch_execnz .LBB2_1101
.LBB2_75:                               ;   in Loop: Header=BB2_40 Depth=1
	s_or_b32 exec_lo, exec_lo, s17
	;;#ASMSTART
	s_wakeup
	;;#ASMEND
.LBB2_76:                               ;   in Loop: Header=BB2_40 Depth=1
	s_or_b32 exec_lo, exec_lo, s9
.LBB2_77:                               ;   in Loop: Header=BB2_40 Depth=1
	s_and_not1_saveexec_b32 s8, s8
	s_cbranch_execz .LBB2_79
; %bb.78:                               ;   in Loop: Header=BB2_40 Depth=1
	s_waitcnt vmcnt(0) lgkmcnt(0)
	s_waitcnt_vscnt null, 0x0
	buffer_gl1_inv
	buffer_gl0_inv
	s_barrier
.LBB2_79:                               ;   in Loop: Header=BB2_40 Depth=1
	s_or_b32 exec_lo, exec_lo, s8
.LBB2_80:                               ;   in Loop: Header=BB2_40 Depth=1
	s_delay_alu instid0(SALU_CYCLE_1) | instskip(SKIP_2) | instid1(VALU_DEP_2)
	s_or_b32 exec_lo, exec_lo, s7
	v_sub_nc_u32_e32 v132, v20, v102
	v_mov_b32_e32 v70, v4
	v_cmp_lt_i32_e64 s7, 0, v132
	s_delay_alu instid0(VALU_DEP_1)
	s_and_saveexec_b32 s9, s7
	s_cbranch_execz .LBB2_216
; %bb.81:                               ;   in Loop: Header=BB2_40 Depth=1
	v_dual_mov_b32 v70, v21 :: v_dual_and_b32 v17, 7, v21
	s_waitcnt vmcnt(0) lgkmcnt(0)
	v_ashrrev_i32_e32 v20, 31, v19
	v_mad_u64_u32 v[80:81], null, v99, v19, v[5:6]
	s_delay_alu instid0(VALU_DEP_3) | instskip(SKIP_1) | instid1(VALU_DEP_4)
	v_mul_lo_u32 v17, v17, s14
	v_mul_lo_u32 v82, v100, v19
	;; [unrolled: 1-line block ×4, first 2 shown]
	v_add_co_u32 v71, vcc_lo, 0, 0
	v_mov_b32_e32 v54, v132
	s_mov_b32 s17, 0
	v_ashrrev_i32_e32 v18, 31, v17
	v_add3_u32 v81, v82, v81, v84
	v_add_lshl_u32 v86, v5, v83, 3
	s_delay_alu instid0(VALU_DEP_3) | instskip(SKIP_2) | instid1(VALU_DEP_3)
	v_lshlrev_b64 v[19:20], 4, v[17:18]
	v_add_co_ci_u32_e32 v18, vcc_lo, 1, v70, vcc_lo
	v_mov_b32_e32 v70, v4
	v_add_co_u32 v82, vcc_lo, v128, v19
	s_delay_alu instid0(VALU_DEP_4)
	v_add_co_ci_u32_e32 v83, vcc_lo, v129, v20, vcc_lo
	s_branch .LBB2_85
.LBB2_82:                               ;   in Loop: Header=BB2_85 Depth=2
	s_or_b32 exec_lo, exec_lo, s8
	s_delay_alu instid0(VALU_DEP_1) | instskip(NEXT) | instid1(VALU_DEP_2)
	v_lshrrev_b32_e32 v135, 20, v135
	v_cmp_gt_i32_e32 vcc_lo, 16, v134
	v_min_i32_e32 v144, 15, v134
	v_lshrrev_b32_e32 v85, 24, v85
	s_delay_alu instid0(VALU_DEP_2) | instskip(NEXT) | instid1(VALU_DEP_2)
	v_dual_cndmask_b32 v135, 7, v135 :: v_dual_lshlrev_b32 v144, 3, v144
	v_and_b32_e32 v85, 0x80, v85
	s_delay_alu instid0(VALU_DEP_2) | instskip(NEXT) | instid1(VALU_DEP_3)
	v_or_b32_e32 v134, v134, v135
	v_and_b32_e32 v144, 0xf8, v144
	s_delay_alu instid0(VALU_DEP_2) | instskip(SKIP_1) | instid1(VALU_DEP_1)
	v_cmp_ne_u32_e32 vcc_lo, 0, v134
	v_and_b32_e32 v145, 7, v135
	v_or3_b32 v85, v85, v144, v145
	s_delay_alu instid0(VALU_DEP_1) | instskip(NEXT) | instid1(VALU_DEP_1)
	v_lshlrev_b32_e32 v85, 8, v85
	v_cndmask_b32_e32 v134, 0, v85, vcc_lo
.LBB2_83:                               ;   in Loop: Header=BB2_85 Depth=2
	s_or_b32 exec_lo, exec_lo, s19
.LBB2_84:                               ;   in Loop: Header=BB2_85 Depth=2
	s_delay_alu instid0(SALU_CYCLE_1)
	s_or_b32 exec_lo, exec_lo, s18
	v_and_b32_e32 v20, 0xff, v20
	v_lshlrev_b32_e32 v19, 8, v19
	v_or_b32_e32 v85, v134, v97
	v_or_b32_e32 v87, v96, v87
	v_sub_nc_u32_e32 v54, v54, v103
	v_lshlrev_b32_e32 v20, 16, v20
	v_add_co_u32 v80, vcc_lo, v80, v103
	v_add_co_ci_u32_e32 v81, vcc_lo, v81, v114, vcc_lo
	s_delay_alu instid0(VALU_DEP_3)
	v_lshl_or_b32 v84, v84, 24, v20
	v_mov_b32_e32 v20, v18
	v_perm_b32 v17, v19, v17, 0xc0c0500
	v_lshlrev_b32_e32 v19, 16, v85
	v_cmp_gt_i32_e32 vcc_lo, 1, v54
	v_add_nc_u32_e32 v70, v70, v1
	v_add_nc_u32_e32 v86, v86, v119
	v_or3_b32 v17, v84, v17, v71
	v_or3_b32 v19, v87, v19, v71
	s_or_b32 s17, vcc_lo, s17
	global_store_b128 v[82:83], v[17:20], off
	v_add_co_u32 v82, s8, v82, v68
	s_delay_alu instid0(VALU_DEP_1)
	v_add_co_ci_u32_e64 v83, s8, v83, v69, s8
	s_and_not1_b32 exec_lo, exec_lo, s17
	s_cbranch_execz .LBB2_215
.LBB2_85:                               ;   Parent Loop BB2_40 Depth=1
                                        ; =>  This Inner Loop Header: Depth=2
	v_dual_mov_b32 v20, v81 :: v_dual_and_b32 v19, -4, v80
	v_min_u32_e32 v84, 8, v54
	v_dual_mov_b32 v96, 0 :: v_dual_and_b32 v85, 3, v80
	v_mov_b32_e32 v87, 0
	flat_load_b32 v17, v[19:20] glc
	v_add_co_u32 v84, s8, v85, v84
	s_delay_alu instid0(VALU_DEP_1) | instskip(SKIP_1) | instid1(VALU_DEP_1)
	v_add_co_ci_u32_e64 v85, null, 0, 0, s8
	s_mov_b32 s8, exec_lo
	v_cmpx_lt_u64_e32 4, v[84:85]
	s_cbranch_execz .LBB2_87
; %bb.86:                               ;   in Loop: Header=BB2_85 Depth=2
	flat_load_b32 v96, v[19:20] offset:4 glc
.LBB2_87:                               ;   in Loop: Header=BB2_85 Depth=2
	s_or_b32 exec_lo, exec_lo, s8
	s_delay_alu instid0(SALU_CYCLE_1)
	s_mov_b32 s8, exec_lo
	v_cmpx_lt_u64_e32 8, v[84:85]
	s_cbranch_execz .LBB2_89
; %bb.88:                               ;   in Loop: Header=BB2_85 Depth=2
	flat_load_b32 v87, v[19:20] offset:8 glc
.LBB2_89:                               ;   in Loop: Header=BB2_85 Depth=2
	s_or_b32 exec_lo, exec_lo, s8
	s_waitcnt vmcnt(0) lgkmcnt(0)
	v_alignbit_b32 v84, v96, v17, v86
	s_mov_b32 s8, 0
	s_mov_b32 s19, exec_lo
                                        ; implicit-def: $sgpr18
	s_delay_alu instid0(VALU_DEP_1) | instskip(NEXT) | instid1(VALU_DEP_1)
	v_and_b32_e32 v19, 0xff, v84
	v_cmpx_lt_i16_e32 0x7f, v19
	s_xor_b32 s19, exec_lo, s19
	s_cbranch_execnz .LBB2_183
; %bb.90:                               ;   in Loop: Header=BB2_85 Depth=2
	s_or_saveexec_b32 s19, s19
	v_mov_b32_e32 v17, s18
	s_xor_b32 exec_lo, exec_lo, s19
	s_cbranch_execnz .LBB2_186
.LBB2_91:                               ;   in Loop: Header=BB2_85 Depth=2
	s_or_b32 exec_lo, exec_lo, s19
	s_and_saveexec_b32 s18, s8
	s_cbranch_execz .LBB2_93
.LBB2_92:                               ;   in Loop: Header=BB2_85 Depth=2
	v_and_b32_e32 v17, 7, v84
	v_bfe_u32 v85, v84, 3, 4
	v_lshlrev_b32_e32 v97, 24, v84
	s_delay_alu instid0(VALU_DEP_3) | instskip(NEXT) | instid1(VALU_DEP_3)
	v_clz_i32_u32_e32 v19, v17
	v_cmp_eq_u32_e32 vcc_lo, 0, v85
	s_delay_alu instid0(VALU_DEP_2) | instskip(NEXT) | instid1(VALU_DEP_1)
	v_min_u32_e32 v19, 32, v19
	v_subrev_nc_u32_e32 v20, 28, v19
	v_sub_nc_u32_e32 v19, 29, v19
	s_delay_alu instid0(VALU_DEP_1) | instskip(NEXT) | instid1(VALU_DEP_1)
	v_dual_cndmask_b32 v19, v85, v19 :: v_dual_lshlrev_b32 v20, v20, v84
	v_and_b32_e32 v20, 7, v20
	s_delay_alu instid0(VALU_DEP_2) | instskip(NEXT) | instid1(VALU_DEP_2)
	v_lshl_add_u32 v19, v19, 23, 0x3b800000
	v_dual_cndmask_b32 v17, v17, v20 :: v_dual_and_b32 v20, 0x80000000, v97
	s_delay_alu instid0(VALU_DEP_1) | instskip(NEXT) | instid1(VALU_DEP_1)
	v_lshlrev_b32_e32 v17, 20, v17
	v_or3_b32 v17, v20, v19, v17
.LBB2_93:                               ;   in Loop: Header=BB2_85 Depth=2
	s_or_b32 exec_lo, exec_lo, s18
	s_delay_alu instid0(VALU_DEP_1) | instskip(NEXT) | instid1(VALU_DEP_1)
	v_mul_f32_e32 v19, v0, v17
	v_and_b32_e32 v17, 0x7f800000, v19
	s_delay_alu instid0(VALU_DEP_1)
	v_cmp_ne_u32_e32 vcc_lo, 0x7f800000, v17
	v_mov_b32_e32 v17, 0x80
	s_and_saveexec_b32 s18, vcc_lo
	s_cbranch_execz .LBB2_101
; %bb.94:                               ;   in Loop: Header=BB2_85 Depth=2
	v_mov_b32_e32 v17, 0
	s_mov_b32 s19, exec_lo
	v_cmpx_ne_u32_e32 0, v19
	s_cbranch_execz .LBB2_100
; %bb.95:                               ;   in Loop: Header=BB2_85 Depth=2
	v_bfe_u32 v17, v19, 23, 8
	s_delay_alu instid0(VALU_DEP_1) | instskip(SKIP_1) | instid1(VALU_DEP_2)
	v_sub_nc_u32_e32 v85, 0x78, v17
	v_cmp_gt_u32_e32 vcc_lo, 0x79, v17
	v_dual_cndmask_b32 v85, 0, v85 :: v_dual_and_b32 v20, 0x7fffff, v19
	s_delay_alu instid0(VALU_DEP_1) | instskip(SKIP_2) | instid1(VALU_DEP_4)
	v_or_b32_e32 v97, 0x800000, v20
	v_cmp_eq_u32_e32 vcc_lo, 0, v17
	v_add_nc_u32_e32 v17, 0xffffff89, v17
	v_cndmask_b32_e64 v85, v85, 0x77, vcc_lo
	s_delay_alu instid0(VALU_DEP_4) | instskip(NEXT) | instid1(VALU_DEP_3)
	v_cndmask_b32_e32 v20, v97, v20, vcc_lo
	v_cndmask_b32_e64 v17, v17, 0xffffff8a, vcc_lo
	s_delay_alu instid0(VALU_DEP_3) | instskip(NEXT) | instid1(VALU_DEP_3)
	v_lshl_add_u32 v97, 0x100000, v85, -1
	v_lshrrev_b32_e32 v134, v85, v20
	v_lshlrev_b32_e64 v144, v85, 0x80000
	s_delay_alu instid0(VALU_DEP_4) | instskip(NEXT) | instid1(VALU_DEP_4)
	v_add_nc_u32_e32 v85, v85, v17
	v_and_b32_e32 v20, v97, v20
	s_delay_alu instid0(VALU_DEP_4) | instskip(NEXT) | instid1(VALU_DEP_2)
	v_bfe_u32 v135, v134, 20, 1
	v_cmp_eq_u32_e64 s8, v20, v144
	s_delay_alu instid0(VALU_DEP_2) | instskip(NEXT) | instid1(VALU_DEP_1)
	v_add_nc_u32_e32 v97, -1, v135
	v_cndmask_b32_e64 v20, 0, v97, s8
	v_lshrrev_b32_e32 v97, 23, v134
	s_mov_b32 s8, exec_lo
	s_delay_alu instid0(VALU_DEP_2) | instskip(NEXT) | instid1(VALU_DEP_2)
	v_add_nc_u32_e32 v20, v20, v134
	v_xor_b32_e32 v97, 1, v97
	s_delay_alu instid0(VALU_DEP_2) | instskip(NEXT) | instid1(VALU_DEP_1)
	v_and_b32_e32 v17, 0xfffff, v20
	v_add_nc_u32_e32 v20, v17, v134
                                        ; implicit-def: $vgpr17
	s_delay_alu instid0(VALU_DEP_3)
	v_cmpx_ne_u32_e64 v85, v97
	s_xor_b32 s8, exec_lo, s8
; %bb.96:                               ;   in Loop: Header=BB2_85 Depth=2
	s_delay_alu instid0(VALU_DEP_2) | instskip(SKIP_2) | instid1(VALU_DEP_2)
	v_cmp_lt_u32_e32 vcc_lo, 0xffffff, v20
	v_sub_nc_u32_e32 v17, v85, v97
	v_cndmask_b32_e64 v85, 0, 1, vcc_lo
	v_add_co_ci_u32_e32 v17, vcc_lo, 0, v17, vcc_lo
	s_delay_alu instid0(VALU_DEP_2)
	v_lshrrev_b32_e32 v20, v85, v20
; %bb.97:                               ;   in Loop: Header=BB2_85 Depth=2
	s_and_not1_saveexec_b32 s8, s8
; %bb.98:                               ;   in Loop: Header=BB2_85 Depth=2
	s_delay_alu instid0(VALU_DEP_1)
	v_bfe_u32 v17, v20, 23, 1
; %bb.99:                               ;   in Loop: Header=BB2_85 Depth=2
	s_or_b32 exec_lo, exec_lo, s8
	v_lshrrev_b32_e32 v20, 20, v20
	s_delay_alu instid0(VALU_DEP_2) | instskip(SKIP_2) | instid1(VALU_DEP_2)
	v_cmp_gt_i32_e32 vcc_lo, 16, v17
	v_lshrrev_b32_e32 v19, 24, v19
	v_min_i32_e32 v85, 15, v17
	v_dual_cndmask_b32 v20, 7, v20 :: v_dual_and_b32 v19, 0x80, v19
	s_delay_alu instid0(VALU_DEP_2) | instskip(NEXT) | instid1(VALU_DEP_2)
	v_lshlrev_b32_e32 v85, 3, v85
	v_and_b32_e32 v97, 7, v20
	v_or_b32_e32 v17, v17, v20
	s_delay_alu instid0(VALU_DEP_2) | instskip(NEXT) | instid1(VALU_DEP_2)
	v_or3_b32 v19, v85, v19, v97
	v_cmp_ne_u32_e32 vcc_lo, 0, v17
	s_delay_alu instid0(VALU_DEP_2)
	v_cndmask_b32_e32 v17, 0, v19, vcc_lo
.LBB2_100:                              ;   in Loop: Header=BB2_85 Depth=2
	s_or_b32 exec_lo, exec_lo, s19
.LBB2_101:                              ;   in Loop: Header=BB2_85 Depth=2
	s_delay_alu instid0(SALU_CYCLE_1) | instskip(SKIP_3) | instid1(VALU_DEP_1)
	s_or_b32 exec_lo, exec_lo, s18
	v_lshrrev_b16 v19, 8, v84
	s_mov_b32 s8, 0
	s_mov_b32 s19, exec_lo
                                        ; implicit-def: $sgpr18
	v_cmpx_lt_i16_e32 0x7f, v19
	s_xor_b32 s19, exec_lo, s19
	s_cbranch_execnz .LBB2_187
; %bb.102:                              ;   in Loop: Header=BB2_85 Depth=2
	s_or_saveexec_b32 s19, s19
	v_mov_b32_e32 v20, s18
	s_xor_b32 exec_lo, exec_lo, s19
	s_cbranch_execnz .LBB2_190
.LBB2_103:                              ;   in Loop: Header=BB2_85 Depth=2
	s_or_b32 exec_lo, exec_lo, s19
	s_and_saveexec_b32 s18, s8
	s_cbranch_execz .LBB2_105
.LBB2_104:                              ;   in Loop: Header=BB2_85 Depth=2
	v_and_b32_e32 v20, 0xffff, v19
	v_lshlrev_b32_e32 v19, 24, v19
	s_delay_alu instid0(VALU_DEP_2) | instskip(NEXT) | instid1(VALU_DEP_2)
	v_and_b32_e32 v85, 7, v20
	v_and_b32_e32 v19, 0x80000000, v19
	s_delay_alu instid0(VALU_DEP_2) | instskip(NEXT) | instid1(VALU_DEP_1)
	v_clz_i32_u32_e32 v97, v85
	v_min_u32_e32 v97, 32, v97
	s_delay_alu instid0(VALU_DEP_1) | instskip(SKIP_1) | instid1(VALU_DEP_2)
	v_subrev_nc_u32_e32 v134, 28, v97
	v_sub_nc_u32_e32 v97, 29, v97
	v_lshlrev_b32_e32 v134, v134, v20
	v_bfe_u32 v20, v20, 3, 4
	s_delay_alu instid0(VALU_DEP_2) | instskip(NEXT) | instid1(VALU_DEP_2)
	v_and_b32_e32 v134, 7, v134
	v_cmp_eq_u32_e32 vcc_lo, 0, v20
	s_delay_alu instid0(VALU_DEP_2) | instskip(NEXT) | instid1(VALU_DEP_1)
	v_dual_cndmask_b32 v20, v20, v97 :: v_dual_cndmask_b32 v85, v85, v134
	v_lshl_add_u32 v20, v20, 23, 0x3b800000
	s_delay_alu instid0(VALU_DEP_2) | instskip(NEXT) | instid1(VALU_DEP_1)
	v_lshlrev_b32_e32 v85, 20, v85
	v_or3_b32 v20, v19, v20, v85
.LBB2_105:                              ;   in Loop: Header=BB2_85 Depth=2
	s_or_b32 exec_lo, exec_lo, s18
	s_delay_alu instid0(VALU_DEP_1) | instskip(NEXT) | instid1(VALU_DEP_1)
	v_mul_f32_e32 v20, v0, v20
	v_and_b32_e32 v19, 0x7f800000, v20
	s_delay_alu instid0(VALU_DEP_1)
	v_cmp_ne_u32_e32 vcc_lo, 0x7f800000, v19
	v_mov_b32_e32 v19, 0x80
	s_and_saveexec_b32 s18, vcc_lo
	s_cbranch_execz .LBB2_113
; %bb.106:                              ;   in Loop: Header=BB2_85 Depth=2
	v_mov_b32_e32 v19, 0
	s_mov_b32 s19, exec_lo
	v_cmpx_ne_u32_e32 0, v20
	s_cbranch_execz .LBB2_112
; %bb.107:                              ;   in Loop: Header=BB2_85 Depth=2
	v_bfe_u32 v19, v20, 23, 8
	v_and_b32_e32 v85, 0x7fffff, v20
	s_delay_alu instid0(VALU_DEP_2) | instskip(SKIP_1) | instid1(VALU_DEP_3)
	v_sub_nc_u32_e32 v97, 0x78, v19
	v_cmp_gt_u32_e32 vcc_lo, 0x79, v19
	v_or_b32_e32 v134, 0x800000, v85
	s_delay_alu instid0(VALU_DEP_3) | instskip(SKIP_2) | instid1(VALU_DEP_3)
	v_cndmask_b32_e32 v97, 0, v97, vcc_lo
	v_cmp_eq_u32_e32 vcc_lo, 0, v19
	v_add_nc_u32_e32 v19, 0xffffff89, v19
	v_cndmask_b32_e64 v97, v97, 0x77, vcc_lo
	v_cndmask_b32_e32 v85, v134, v85, vcc_lo
	s_delay_alu instid0(VALU_DEP_3) | instskip(NEXT) | instid1(VALU_DEP_3)
	v_cndmask_b32_e64 v19, v19, 0xffffff8a, vcc_lo
	v_lshl_add_u32 v134, 0x100000, v97, -1
	s_delay_alu instid0(VALU_DEP_3) | instskip(SKIP_1) | instid1(VALU_DEP_4)
	v_lshrrev_b32_e32 v135, v97, v85
	v_lshlrev_b32_e64 v145, v97, 0x80000
	v_add_nc_u32_e32 v97, v97, v19
	s_delay_alu instid0(VALU_DEP_4) | instskip(NEXT) | instid1(VALU_DEP_4)
	v_and_b32_e32 v85, v134, v85
	v_bfe_u32 v144, v135, 20, 1
	s_delay_alu instid0(VALU_DEP_2) | instskip(NEXT) | instid1(VALU_DEP_2)
	v_cmp_eq_u32_e64 s8, v85, v145
	v_add_nc_u32_e32 v134, -1, v144
	s_delay_alu instid0(VALU_DEP_1) | instskip(SKIP_2) | instid1(VALU_DEP_2)
	v_cndmask_b32_e64 v85, 0, v134, s8
	v_lshrrev_b32_e32 v134, 23, v135
	s_mov_b32 s8, exec_lo
	v_add_nc_u32_e32 v85, v85, v135
	s_delay_alu instid0(VALU_DEP_2) | instskip(NEXT) | instid1(VALU_DEP_2)
	v_xor_b32_e32 v134, 1, v134
	v_and_b32_e32 v19, 0xfffff, v85
	s_delay_alu instid0(VALU_DEP_1) | instskip(NEXT) | instid1(VALU_DEP_3)
	v_add_nc_u32_e32 v85, v19, v135
                                        ; implicit-def: $vgpr19
	v_cmpx_ne_u32_e64 v97, v134
	s_xor_b32 s8, exec_lo, s8
; %bb.108:                              ;   in Loop: Header=BB2_85 Depth=2
	s_delay_alu instid0(VALU_DEP_2) | instskip(SKIP_2) | instid1(VALU_DEP_2)
	v_cmp_lt_u32_e32 vcc_lo, 0xffffff, v85
	v_sub_nc_u32_e32 v19, v97, v134
	v_cndmask_b32_e64 v97, 0, 1, vcc_lo
	v_add_co_ci_u32_e32 v19, vcc_lo, 0, v19, vcc_lo
	s_delay_alu instid0(VALU_DEP_2)
	v_lshrrev_b32_e32 v85, v97, v85
; %bb.109:                              ;   in Loop: Header=BB2_85 Depth=2
	s_and_not1_saveexec_b32 s8, s8
; %bb.110:                              ;   in Loop: Header=BB2_85 Depth=2
	s_delay_alu instid0(VALU_DEP_1)
	v_bfe_u32 v19, v85, 23, 1
; %bb.111:                              ;   in Loop: Header=BB2_85 Depth=2
	s_or_b32 exec_lo, exec_lo, s8
	v_lshrrev_b32_e32 v85, 20, v85
	s_delay_alu instid0(VALU_DEP_2) | instskip(SKIP_2) | instid1(VALU_DEP_2)
	v_cmp_gt_i32_e32 vcc_lo, 16, v19
	v_lshrrev_b32_e32 v20, 24, v20
	v_min_i32_e32 v97, 15, v19
	v_dual_cndmask_b32 v85, 7, v85 :: v_dual_and_b32 v20, 0x80, v20
	s_delay_alu instid0(VALU_DEP_2) | instskip(NEXT) | instid1(VALU_DEP_2)
	v_lshlrev_b32_e32 v97, 3, v97
	v_or_b32_e32 v19, v19, v85
	s_delay_alu instid0(VALU_DEP_1) | instskip(SKIP_1) | instid1(VALU_DEP_1)
	v_cmp_ne_u32_e32 vcc_lo, 0, v19
	v_and_b32_e32 v134, 7, v85
	v_or3_b32 v20, v97, v20, v134
	s_delay_alu instid0(VALU_DEP_1)
	v_cndmask_b32_e32 v19, 0, v20, vcc_lo
.LBB2_112:                              ;   in Loop: Header=BB2_85 Depth=2
	s_or_b32 exec_lo, exec_lo, s19
.LBB2_113:                              ;   in Loop: Header=BB2_85 Depth=2
	s_delay_alu instid0(SALU_CYCLE_1) | instskip(SKIP_3) | instid1(VALU_DEP_1)
	s_or_b32 exec_lo, exec_lo, s18
	v_lshrrev_b32_e32 v20, 16, v84
	s_mov_b32 s8, 0
	s_mov_b32 s19, exec_lo
                                        ; implicit-def: $sgpr18
	v_and_b32_e32 v97, 0xff, v20
	s_delay_alu instid0(VALU_DEP_1)
	v_cmpx_lt_i16_e32 0x7f, v97
	s_xor_b32 s19, exec_lo, s19
	s_cbranch_execnz .LBB2_191
; %bb.114:                              ;   in Loop: Header=BB2_85 Depth=2
	s_or_saveexec_b32 s19, s19
	v_mov_b32_e32 v85, s18
	s_xor_b32 exec_lo, exec_lo, s19
	s_cbranch_execnz .LBB2_194
.LBB2_115:                              ;   in Loop: Header=BB2_85 Depth=2
	s_or_b32 exec_lo, exec_lo, s19
	s_and_saveexec_b32 s18, s8
	s_cbranch_execz .LBB2_117
.LBB2_116:                              ;   in Loop: Header=BB2_85 Depth=2
	v_bfe_u32 v85, v84, 16, 3
	v_lshlrev_b32_e32 v135, 8, v84
	s_delay_alu instid0(VALU_DEP_2) | instskip(NEXT) | instid1(VALU_DEP_1)
	v_clz_i32_u32_e32 v97, v85
	v_min_u32_e32 v97, 32, v97
	s_delay_alu instid0(VALU_DEP_1) | instskip(SKIP_1) | instid1(VALU_DEP_2)
	v_subrev_nc_u32_e32 v134, 28, v97
	v_sub_nc_u32_e32 v97, 29, v97
	v_lshlrev_b32_e32 v20, v134, v20
	v_bfe_u32 v134, v84, 19, 4
	s_delay_alu instid0(VALU_DEP_1) | instskip(NEXT) | instid1(VALU_DEP_3)
	v_cmp_eq_u32_e32 vcc_lo, 0, v134
	v_dual_cndmask_b32 v97, v134, v97 :: v_dual_and_b32 v20, 7, v20
	s_delay_alu instid0(VALU_DEP_1) | instskip(NEXT) | instid1(VALU_DEP_2)
	v_dual_cndmask_b32 v20, v85, v20 :: v_dual_and_b32 v85, 0x80000000, v135
	v_lshl_add_u32 v97, v97, 23, 0x3b800000
	s_delay_alu instid0(VALU_DEP_2) | instskip(NEXT) | instid1(VALU_DEP_1)
	v_lshlrev_b32_e32 v20, 20, v20
	v_or3_b32 v85, v85, v97, v20
.LBB2_117:                              ;   in Loop: Header=BB2_85 Depth=2
	s_or_b32 exec_lo, exec_lo, s18
	s_delay_alu instid0(VALU_DEP_1) | instskip(NEXT) | instid1(VALU_DEP_1)
	v_mul_f32_e32 v85, v0, v85
	v_and_b32_e32 v20, 0x7f800000, v85
	s_delay_alu instid0(VALU_DEP_1)
	v_cmp_ne_u32_e32 vcc_lo, 0x7f800000, v20
	v_mov_b32_e32 v20, 0x80
	s_and_saveexec_b32 s18, vcc_lo
	s_cbranch_execz .LBB2_125
; %bb.118:                              ;   in Loop: Header=BB2_85 Depth=2
	v_mov_b32_e32 v20, 0
	s_mov_b32 s19, exec_lo
	v_cmpx_ne_u32_e32 0, v85
	s_cbranch_execz .LBB2_124
; %bb.119:                              ;   in Loop: Header=BB2_85 Depth=2
	v_bfe_u32 v20, v85, 23, 8
	s_delay_alu instid0(VALU_DEP_1) | instskip(SKIP_1) | instid1(VALU_DEP_2)
	v_sub_nc_u32_e32 v134, 0x78, v20
	v_cmp_gt_u32_e32 vcc_lo, 0x79, v20
	v_dual_cndmask_b32 v134, 0, v134 :: v_dual_and_b32 v97, 0x7fffff, v85
	s_delay_alu instid0(VALU_DEP_1) | instskip(SKIP_2) | instid1(VALU_DEP_4)
	v_or_b32_e32 v135, 0x800000, v97
	v_cmp_eq_u32_e32 vcc_lo, 0, v20
	v_add_nc_u32_e32 v20, 0xffffff89, v20
	v_cndmask_b32_e64 v134, v134, 0x77, vcc_lo
	s_delay_alu instid0(VALU_DEP_4) | instskip(NEXT) | instid1(VALU_DEP_3)
	v_cndmask_b32_e32 v97, v135, v97, vcc_lo
	v_cndmask_b32_e64 v20, v20, 0xffffff8a, vcc_lo
	s_delay_alu instid0(VALU_DEP_3) | instskip(NEXT) | instid1(VALU_DEP_3)
	v_lshl_add_u32 v135, 0x100000, v134, -1
	v_lshrrev_b32_e32 v144, v134, v97
	v_lshlrev_b32_e64 v146, v134, 0x80000
	s_delay_alu instid0(VALU_DEP_4) | instskip(NEXT) | instid1(VALU_DEP_4)
	v_add_nc_u32_e32 v134, v134, v20
	v_and_b32_e32 v97, v135, v97
	s_delay_alu instid0(VALU_DEP_4) | instskip(NEXT) | instid1(VALU_DEP_2)
	v_bfe_u32 v145, v144, 20, 1
	v_cmp_eq_u32_e64 s8, v97, v146
	s_delay_alu instid0(VALU_DEP_2) | instskip(NEXT) | instid1(VALU_DEP_1)
	v_add_nc_u32_e32 v135, -1, v145
	v_cndmask_b32_e64 v97, 0, v135, s8
	v_lshrrev_b32_e32 v135, 23, v144
	s_mov_b32 s8, exec_lo
	s_delay_alu instid0(VALU_DEP_2) | instskip(NEXT) | instid1(VALU_DEP_2)
	v_add_nc_u32_e32 v97, v97, v144
	v_xor_b32_e32 v135, 1, v135
	s_delay_alu instid0(VALU_DEP_2) | instskip(NEXT) | instid1(VALU_DEP_1)
	v_and_b32_e32 v20, 0xfffff, v97
	v_add_nc_u32_e32 v97, v20, v144
                                        ; implicit-def: $vgpr20
	s_delay_alu instid0(VALU_DEP_3)
	v_cmpx_ne_u32_e64 v134, v135
	s_xor_b32 s8, exec_lo, s8
; %bb.120:                              ;   in Loop: Header=BB2_85 Depth=2
	s_delay_alu instid0(VALU_DEP_2) | instskip(SKIP_2) | instid1(VALU_DEP_2)
	v_cmp_lt_u32_e32 vcc_lo, 0xffffff, v97
	v_sub_nc_u32_e32 v20, v134, v135
	v_cndmask_b32_e64 v134, 0, 1, vcc_lo
	v_add_co_ci_u32_e32 v20, vcc_lo, 0, v20, vcc_lo
	s_delay_alu instid0(VALU_DEP_2)
	v_lshrrev_b32_e32 v97, v134, v97
; %bb.121:                              ;   in Loop: Header=BB2_85 Depth=2
	s_and_not1_saveexec_b32 s8, s8
; %bb.122:                              ;   in Loop: Header=BB2_85 Depth=2
	s_delay_alu instid0(VALU_DEP_1)
	v_bfe_u32 v20, v97, 23, 1
; %bb.123:                              ;   in Loop: Header=BB2_85 Depth=2
	s_or_b32 exec_lo, exec_lo, s8
	v_lshrrev_b32_e32 v97, 20, v97
	s_delay_alu instid0(VALU_DEP_2) | instskip(SKIP_2) | instid1(VALU_DEP_4)
	v_cmp_gt_i32_e32 vcc_lo, 16, v20
	v_lshrrev_b32_e32 v85, 24, v85
	v_min_i32_e32 v134, 15, v20
	v_cndmask_b32_e32 v97, 7, v97, vcc_lo
	s_delay_alu instid0(VALU_DEP_3) | instskip(NEXT) | instid1(VALU_DEP_3)
	v_and_b32_e32 v85, 0x80, v85
	v_lshlrev_b32_e32 v134, 3, v134
	s_delay_alu instid0(VALU_DEP_3) | instskip(SKIP_1) | instid1(VALU_DEP_2)
	v_and_b32_e32 v135, 7, v97
	v_or_b32_e32 v20, v20, v97
	v_or3_b32 v85, v134, v85, v135
	s_delay_alu instid0(VALU_DEP_2) | instskip(NEXT) | instid1(VALU_DEP_2)
	v_cmp_ne_u32_e32 vcc_lo, 0, v20
	v_cndmask_b32_e32 v20, 0, v85, vcc_lo
.LBB2_124:                              ;   in Loop: Header=BB2_85 Depth=2
	s_or_b32 exec_lo, exec_lo, s19
.LBB2_125:                              ;   in Loop: Header=BB2_85 Depth=2
	s_delay_alu instid0(SALU_CYCLE_1) | instskip(SKIP_3) | instid1(VALU_DEP_1)
	s_or_b32 exec_lo, exec_lo, s18
	v_lshrrev_b32_e32 v85, 24, v84
	s_mov_b32 s8, 0
	s_mov_b32 s19, exec_lo
                                        ; implicit-def: $sgpr18
	v_cmpx_lt_i16_e32 0x7f, v85
	s_xor_b32 s19, exec_lo, s19
	s_cbranch_execnz .LBB2_195
; %bb.126:                              ;   in Loop: Header=BB2_85 Depth=2
	s_or_saveexec_b32 s19, s19
	v_mov_b32_e32 v97, s18
	s_xor_b32 exec_lo, exec_lo, s19
	s_cbranch_execnz .LBB2_198
.LBB2_127:                              ;   in Loop: Header=BB2_85 Depth=2
	s_or_b32 exec_lo, exec_lo, s19
	s_and_saveexec_b32 s18, s8
	s_cbranch_execz .LBB2_129
.LBB2_128:                              ;   in Loop: Header=BB2_85 Depth=2
	v_bfe_u32 v97, v84, 24, 3
	s_delay_alu instid0(VALU_DEP_1) | instskip(NEXT) | instid1(VALU_DEP_1)
	v_clz_i32_u32_e32 v134, v97
	v_min_u32_e32 v134, 32, v134
	s_delay_alu instid0(VALU_DEP_1) | instskip(SKIP_1) | instid1(VALU_DEP_2)
	v_subrev_nc_u32_e32 v135, 28, v134
	v_sub_nc_u32_e32 v134, 29, v134
	v_lshlrev_b32_e32 v85, v135, v85
	v_bfe_u32 v135, v84, 27, 4
	v_and_b32_e32 v84, 0x80000000, v84
	s_delay_alu instid0(VALU_DEP_2) | instskip(NEXT) | instid1(VALU_DEP_4)
	v_cmp_eq_u32_e32 vcc_lo, 0, v135
	v_dual_cndmask_b32 v134, v135, v134 :: v_dual_and_b32 v85, 7, v85
	s_delay_alu instid0(VALU_DEP_1) | instskip(NEXT) | instid1(VALU_DEP_2)
	v_cndmask_b32_e32 v85, v97, v85, vcc_lo
	v_lshl_add_u32 v97, v134, 23, 0x3b800000
	s_delay_alu instid0(VALU_DEP_2) | instskip(NEXT) | instid1(VALU_DEP_1)
	v_lshlrev_b32_e32 v85, 20, v85
	v_or3_b32 v97, v84, v97, v85
.LBB2_129:                              ;   in Loop: Header=BB2_85 Depth=2
	s_or_b32 exec_lo, exec_lo, s18
	s_delay_alu instid0(VALU_DEP_1) | instskip(NEXT) | instid1(VALU_DEP_1)
	v_mul_f32_e32 v85, v0, v97
	v_and_b32_e32 v84, 0x7f800000, v85
	s_delay_alu instid0(VALU_DEP_1)
	v_cmp_ne_u32_e32 vcc_lo, 0x7f800000, v84
	v_mov_b32_e32 v84, 0x80
	s_and_saveexec_b32 s18, vcc_lo
	s_cbranch_execz .LBB2_137
; %bb.130:                              ;   in Loop: Header=BB2_85 Depth=2
	v_mov_b32_e32 v84, 0
	s_mov_b32 s19, exec_lo
	v_cmpx_ne_u32_e32 0, v85
	s_cbranch_execz .LBB2_136
; %bb.131:                              ;   in Loop: Header=BB2_85 Depth=2
	v_bfe_u32 v84, v85, 23, 8
	s_delay_alu instid0(VALU_DEP_1) | instskip(SKIP_1) | instid1(VALU_DEP_2)
	v_sub_nc_u32_e32 v134, 0x78, v84
	v_cmp_gt_u32_e32 vcc_lo, 0x79, v84
	v_dual_cndmask_b32 v134, 0, v134 :: v_dual_and_b32 v97, 0x7fffff, v85
	s_delay_alu instid0(VALU_DEP_1) | instskip(SKIP_2) | instid1(VALU_DEP_4)
	v_or_b32_e32 v135, 0x800000, v97
	v_cmp_eq_u32_e32 vcc_lo, 0, v84
	v_add_nc_u32_e32 v84, 0xffffff89, v84
	v_cndmask_b32_e64 v134, v134, 0x77, vcc_lo
	s_delay_alu instid0(VALU_DEP_4) | instskip(NEXT) | instid1(VALU_DEP_3)
	v_cndmask_b32_e32 v97, v135, v97, vcc_lo
	v_cndmask_b32_e64 v84, v84, 0xffffff8a, vcc_lo
	s_delay_alu instid0(VALU_DEP_3) | instskip(NEXT) | instid1(VALU_DEP_3)
	v_lshl_add_u32 v135, 0x100000, v134, -1
	v_lshrrev_b32_e32 v144, v134, v97
	v_lshlrev_b32_e64 v146, v134, 0x80000
	s_delay_alu instid0(VALU_DEP_4) | instskip(NEXT) | instid1(VALU_DEP_4)
	v_add_nc_u32_e32 v134, v134, v84
	v_and_b32_e32 v97, v135, v97
	s_delay_alu instid0(VALU_DEP_4) | instskip(NEXT) | instid1(VALU_DEP_2)
	v_bfe_u32 v145, v144, 20, 1
	v_cmp_eq_u32_e64 s8, v97, v146
	s_delay_alu instid0(VALU_DEP_2) | instskip(NEXT) | instid1(VALU_DEP_1)
	v_add_nc_u32_e32 v135, -1, v145
	v_cndmask_b32_e64 v97, 0, v135, s8
	v_lshrrev_b32_e32 v135, 23, v144
	s_mov_b32 s8, exec_lo
	s_delay_alu instid0(VALU_DEP_2) | instskip(NEXT) | instid1(VALU_DEP_2)
	v_add_nc_u32_e32 v97, v97, v144
	v_xor_b32_e32 v135, 1, v135
	s_delay_alu instid0(VALU_DEP_2) | instskip(NEXT) | instid1(VALU_DEP_1)
	v_and_b32_e32 v84, 0xfffff, v97
	v_add_nc_u32_e32 v97, v84, v144
                                        ; implicit-def: $vgpr84
	s_delay_alu instid0(VALU_DEP_3)
	v_cmpx_ne_u32_e64 v134, v135
	s_xor_b32 s8, exec_lo, s8
; %bb.132:                              ;   in Loop: Header=BB2_85 Depth=2
	s_delay_alu instid0(VALU_DEP_2) | instskip(SKIP_2) | instid1(VALU_DEP_2)
	v_cmp_lt_u32_e32 vcc_lo, 0xffffff, v97
	v_sub_nc_u32_e32 v84, v134, v135
	v_cndmask_b32_e64 v134, 0, 1, vcc_lo
	v_add_co_ci_u32_e32 v84, vcc_lo, 0, v84, vcc_lo
	s_delay_alu instid0(VALU_DEP_2)
	v_lshrrev_b32_e32 v97, v134, v97
; %bb.133:                              ;   in Loop: Header=BB2_85 Depth=2
	s_and_not1_saveexec_b32 s8, s8
; %bb.134:                              ;   in Loop: Header=BB2_85 Depth=2
	s_delay_alu instid0(VALU_DEP_1)
	v_bfe_u32 v84, v97, 23, 1
; %bb.135:                              ;   in Loop: Header=BB2_85 Depth=2
	s_or_b32 exec_lo, exec_lo, s8
	v_lshrrev_b32_e32 v97, 20, v97
	s_delay_alu instid0(VALU_DEP_2) | instskip(SKIP_2) | instid1(VALU_DEP_4)
	v_cmp_gt_i32_e32 vcc_lo, 16, v84
	v_lshrrev_b32_e32 v85, 24, v85
	v_min_i32_e32 v134, 15, v84
	v_cndmask_b32_e32 v97, 7, v97, vcc_lo
	s_delay_alu instid0(VALU_DEP_3) | instskip(NEXT) | instid1(VALU_DEP_3)
	v_and_b32_e32 v85, 0x80, v85
	v_lshlrev_b32_e32 v134, 3, v134
	s_delay_alu instid0(VALU_DEP_3) | instskip(SKIP_1) | instid1(VALU_DEP_2)
	v_and_b32_e32 v135, 7, v97
	v_or_b32_e32 v84, v84, v97
	v_or3_b32 v85, v134, v85, v135
	s_delay_alu instid0(VALU_DEP_2) | instskip(NEXT) | instid1(VALU_DEP_2)
	v_cmp_ne_u32_e32 vcc_lo, 0, v84
	v_cndmask_b32_e32 v84, 0, v85, vcc_lo
.LBB2_136:                              ;   in Loop: Header=BB2_85 Depth=2
	s_or_b32 exec_lo, exec_lo, s19
.LBB2_137:                              ;   in Loop: Header=BB2_85 Depth=2
	s_delay_alu instid0(SALU_CYCLE_1) | instskip(SKIP_3) | instid1(VALU_DEP_1)
	s_or_b32 exec_lo, exec_lo, s18
	v_alignbit_b32 v85, v87, v96, v86
	s_mov_b32 s8, 0
	s_mov_b32 s19, exec_lo
                                        ; implicit-def: $sgpr18
	v_and_b32_e32 v96, 0xff, v85
	s_delay_alu instid0(VALU_DEP_1)
	v_cmpx_lt_i16_e32 0x7f, v96
	s_xor_b32 s19, exec_lo, s19
	s_cbranch_execnz .LBB2_199
; %bb.138:                              ;   in Loop: Header=BB2_85 Depth=2
	s_or_saveexec_b32 s19, s19
	v_mov_b32_e32 v87, s18
	s_xor_b32 exec_lo, exec_lo, s19
	s_cbranch_execnz .LBB2_202
.LBB2_139:                              ;   in Loop: Header=BB2_85 Depth=2
	s_or_b32 exec_lo, exec_lo, s19
	s_and_saveexec_b32 s18, s8
	s_cbranch_execz .LBB2_141
.LBB2_140:                              ;   in Loop: Header=BB2_85 Depth=2
	v_bfe_u32 v134, v85, 3, 4
	v_lshlrev_b32_e32 v135, 24, v85
	s_delay_alu instid0(VALU_DEP_2) | instskip(SKIP_1) | instid1(VALU_DEP_1)
	v_cmp_eq_u32_e32 vcc_lo, 0, v134
	v_and_b32_e32 v87, 7, v85
	v_clz_i32_u32_e32 v96, v87
	s_delay_alu instid0(VALU_DEP_1) | instskip(NEXT) | instid1(VALU_DEP_1)
	v_min_u32_e32 v96, 32, v96
	v_subrev_nc_u32_e32 v97, 28, v96
	v_sub_nc_u32_e32 v96, 29, v96
	s_delay_alu instid0(VALU_DEP_1) | instskip(NEXT) | instid1(VALU_DEP_1)
	v_dual_cndmask_b32 v96, v134, v96 :: v_dual_lshlrev_b32 v97, v97, v85
	v_and_b32_e32 v97, 7, v97
	s_delay_alu instid0(VALU_DEP_2) | instskip(NEXT) | instid1(VALU_DEP_2)
	v_lshl_add_u32 v96, v96, 23, 0x3b800000
	v_cndmask_b32_e32 v87, v87, v97, vcc_lo
	v_and_b32_e32 v97, 0x80000000, v135
	s_delay_alu instid0(VALU_DEP_2) | instskip(NEXT) | instid1(VALU_DEP_1)
	v_lshlrev_b32_e32 v87, 20, v87
	v_or3_b32 v87, v97, v96, v87
.LBB2_141:                              ;   in Loop: Header=BB2_85 Depth=2
	s_or_b32 exec_lo, exec_lo, s18
	s_delay_alu instid0(VALU_DEP_1) | instskip(NEXT) | instid1(VALU_DEP_1)
	v_mul_f32_e32 v96, v0, v87
	v_and_b32_e32 v87, 0x7f800000, v96
	s_delay_alu instid0(VALU_DEP_1)
	v_cmp_ne_u32_e32 vcc_lo, 0x7f800000, v87
	v_mov_b32_e32 v87, 0x80
	s_and_saveexec_b32 s18, vcc_lo
	s_cbranch_execz .LBB2_149
; %bb.142:                              ;   in Loop: Header=BB2_85 Depth=2
	v_mov_b32_e32 v87, 0
	s_mov_b32 s19, exec_lo
	v_cmpx_ne_u32_e32 0, v96
	s_cbranch_execz .LBB2_148
; %bb.143:                              ;   in Loop: Header=BB2_85 Depth=2
	v_bfe_u32 v87, v96, 23, 8
	s_delay_alu instid0(VALU_DEP_1) | instskip(SKIP_1) | instid1(VALU_DEP_2)
	v_sub_nc_u32_e32 v134, 0x78, v87
	v_cmp_gt_u32_e32 vcc_lo, 0x79, v87
	v_dual_cndmask_b32 v134, 0, v134 :: v_dual_and_b32 v97, 0x7fffff, v96
	s_delay_alu instid0(VALU_DEP_1) | instskip(SKIP_2) | instid1(VALU_DEP_4)
	v_or_b32_e32 v135, 0x800000, v97
	v_cmp_eq_u32_e32 vcc_lo, 0, v87
	v_add_nc_u32_e32 v87, 0xffffff89, v87
	v_cndmask_b32_e64 v134, v134, 0x77, vcc_lo
	s_delay_alu instid0(VALU_DEP_2) | instskip(SKIP_1) | instid1(VALU_DEP_3)
	v_cndmask_b32_e64 v87, v87, 0xffffff8a, vcc_lo
	v_cndmask_b32_e32 v97, v135, v97, vcc_lo
	v_lshl_add_u32 v135, 0x100000, v134, -1
	v_lshlrev_b32_e64 v146, v134, 0x80000
	s_delay_alu instid0(VALU_DEP_3) | instskip(SKIP_1) | instid1(VALU_DEP_4)
	v_lshrrev_b32_e32 v144, v134, v97
	v_add_nc_u32_e32 v134, v134, v87
	v_and_b32_e32 v97, v135, v97
	s_delay_alu instid0(VALU_DEP_3) | instskip(NEXT) | instid1(VALU_DEP_2)
	v_bfe_u32 v145, v144, 20, 1
	v_cmp_eq_u32_e64 s8, v97, v146
	s_delay_alu instid0(VALU_DEP_2) | instskip(NEXT) | instid1(VALU_DEP_1)
	v_add_nc_u32_e32 v135, -1, v145
	v_cndmask_b32_e64 v97, 0, v135, s8
	v_lshrrev_b32_e32 v135, 23, v144
	s_mov_b32 s8, exec_lo
	s_delay_alu instid0(VALU_DEP_2) | instskip(NEXT) | instid1(VALU_DEP_2)
	v_add_nc_u32_e32 v97, v97, v144
	v_xor_b32_e32 v135, 1, v135
	s_delay_alu instid0(VALU_DEP_2) | instskip(NEXT) | instid1(VALU_DEP_1)
	v_and_b32_e32 v87, 0xfffff, v97
	v_add_nc_u32_e32 v97, v87, v144
                                        ; implicit-def: $vgpr87
	s_delay_alu instid0(VALU_DEP_3)
	v_cmpx_ne_u32_e64 v134, v135
	s_xor_b32 s8, exec_lo, s8
; %bb.144:                              ;   in Loop: Header=BB2_85 Depth=2
	s_delay_alu instid0(VALU_DEP_2) | instskip(SKIP_2) | instid1(VALU_DEP_2)
	v_cmp_lt_u32_e32 vcc_lo, 0xffffff, v97
	v_sub_nc_u32_e32 v87, v134, v135
	v_cndmask_b32_e64 v134, 0, 1, vcc_lo
	v_add_co_ci_u32_e32 v87, vcc_lo, 0, v87, vcc_lo
	s_delay_alu instid0(VALU_DEP_2)
	v_lshrrev_b32_e32 v97, v134, v97
; %bb.145:                              ;   in Loop: Header=BB2_85 Depth=2
	s_and_not1_saveexec_b32 s8, s8
; %bb.146:                              ;   in Loop: Header=BB2_85 Depth=2
	s_delay_alu instid0(VALU_DEP_1)
	v_bfe_u32 v87, v97, 23, 1
; %bb.147:                              ;   in Loop: Header=BB2_85 Depth=2
	s_or_b32 exec_lo, exec_lo, s8
	v_lshrrev_b32_e32 v97, 20, v97
	s_delay_alu instid0(VALU_DEP_2) | instskip(SKIP_2) | instid1(VALU_DEP_2)
	v_cmp_gt_i32_e32 vcc_lo, 16, v87
	v_min_i32_e32 v134, 15, v87
	v_lshrrev_b32_e32 v96, 24, v96
	v_dual_cndmask_b32 v97, 7, v97 :: v_dual_lshlrev_b32 v134, 3, v134
	s_delay_alu instid0(VALU_DEP_2) | instskip(NEXT) | instid1(VALU_DEP_2)
	v_and_b32_e32 v96, 0x80, v96
	v_or_b32_e32 v87, v87, v97
	v_and_b32_e32 v135, 7, v97
	s_delay_alu instid0(VALU_DEP_2) | instskip(SKIP_1) | instid1(VALU_DEP_1)
	v_cmp_ne_u32_e32 vcc_lo, 0, v87
	v_and_b32_e32 v134, 0xf8, v134
	v_or3_b32 v96, v134, v96, v135
	s_delay_alu instid0(VALU_DEP_1)
	v_cndmask_b32_e32 v87, 0, v96, vcc_lo
.LBB2_148:                              ;   in Loop: Header=BB2_85 Depth=2
	s_or_b32 exec_lo, exec_lo, s19
.LBB2_149:                              ;   in Loop: Header=BB2_85 Depth=2
	s_delay_alu instid0(SALU_CYCLE_1) | instskip(SKIP_3) | instid1(VALU_DEP_1)
	s_or_b32 exec_lo, exec_lo, s18
	v_lshrrev_b16 v96, 8, v85
	s_mov_b32 s8, 0
	s_mov_b32 s19, exec_lo
                                        ; implicit-def: $sgpr18
	v_cmpx_lt_i16_e32 0x7f, v96
	s_xor_b32 s19, exec_lo, s19
	s_cbranch_execnz .LBB2_203
; %bb.150:                              ;   in Loop: Header=BB2_85 Depth=2
	s_or_saveexec_b32 s19, s19
	v_mov_b32_e32 v97, s18
	s_xor_b32 exec_lo, exec_lo, s19
	s_cbranch_execnz .LBB2_206
.LBB2_151:                              ;   in Loop: Header=BB2_85 Depth=2
	s_or_b32 exec_lo, exec_lo, s19
	s_and_saveexec_b32 s18, s8
	s_cbranch_execz .LBB2_153
.LBB2_152:                              ;   in Loop: Header=BB2_85 Depth=2
	v_and_b32_e32 v97, 0xffff, v96
	v_lshlrev_b32_e32 v96, 24, v96
	s_delay_alu instid0(VALU_DEP_2) | instskip(NEXT) | instid1(VALU_DEP_2)
	v_and_b32_e32 v134, 7, v97
	v_and_b32_e32 v96, 0x80000000, v96
	s_delay_alu instid0(VALU_DEP_2) | instskip(NEXT) | instid1(VALU_DEP_1)
	v_clz_i32_u32_e32 v135, v134
	v_min_u32_e32 v135, 32, v135
	s_delay_alu instid0(VALU_DEP_1) | instskip(SKIP_1) | instid1(VALU_DEP_2)
	v_subrev_nc_u32_e32 v144, 28, v135
	v_sub_nc_u32_e32 v135, 29, v135
	v_lshlrev_b32_e32 v144, v144, v97
	v_bfe_u32 v97, v97, 3, 4
	s_delay_alu instid0(VALU_DEP_2) | instskip(NEXT) | instid1(VALU_DEP_2)
	v_and_b32_e32 v144, 7, v144
	v_cmp_eq_u32_e32 vcc_lo, 0, v97
	s_delay_alu instid0(VALU_DEP_2) | instskip(NEXT) | instid1(VALU_DEP_1)
	v_dual_cndmask_b32 v97, v97, v135 :: v_dual_cndmask_b32 v134, v134, v144
	v_lshl_add_u32 v97, v97, 23, 0x3b800000
	s_delay_alu instid0(VALU_DEP_2) | instskip(NEXT) | instid1(VALU_DEP_1)
	v_lshlrev_b32_e32 v134, 20, v134
	v_or3_b32 v97, v96, v97, v134
.LBB2_153:                              ;   in Loop: Header=BB2_85 Depth=2
	s_or_b32 exec_lo, exec_lo, s18
	s_delay_alu instid0(VALU_DEP_1) | instskip(NEXT) | instid1(VALU_DEP_1)
	v_mul_f32_e32 v97, v0, v97
	v_and_b32_e32 v96, 0x7f800000, v97
	s_delay_alu instid0(VALU_DEP_1)
	v_cmp_ne_u32_e32 vcc_lo, 0x7f800000, v96
	v_mov_b32_e32 v96, 0x8000
	s_and_saveexec_b32 s18, vcc_lo
	s_cbranch_execz .LBB2_161
; %bb.154:                              ;   in Loop: Header=BB2_85 Depth=2
	v_mov_b32_e32 v96, 0
	s_mov_b32 s19, exec_lo
	v_cmpx_ne_u32_e32 0, v97
	s_cbranch_execz .LBB2_160
; %bb.155:                              ;   in Loop: Header=BB2_85 Depth=2
	v_bfe_u32 v96, v97, 23, 8
	s_delay_alu instid0(VALU_DEP_1) | instskip(SKIP_1) | instid1(VALU_DEP_2)
	v_sub_nc_u32_e32 v135, 0x78, v96
	v_cmp_gt_u32_e32 vcc_lo, 0x79, v96
	v_dual_cndmask_b32 v135, 0, v135 :: v_dual_and_b32 v134, 0x7fffff, v97
	s_delay_alu instid0(VALU_DEP_1) | instskip(SKIP_2) | instid1(VALU_DEP_4)
	v_or_b32_e32 v144, 0x800000, v134
	v_cmp_eq_u32_e32 vcc_lo, 0, v96
	v_add_nc_u32_e32 v96, 0xffffff89, v96
	v_cndmask_b32_e64 v135, v135, 0x77, vcc_lo
	s_delay_alu instid0(VALU_DEP_2) | instskip(SKIP_1) | instid1(VALU_DEP_3)
	v_cndmask_b32_e64 v96, v96, 0xffffff8a, vcc_lo
	v_cndmask_b32_e32 v134, v144, v134, vcc_lo
	v_lshl_add_u32 v144, 0x100000, v135, -1
	v_lshlrev_b32_e64 v147, v135, 0x80000
	s_delay_alu instid0(VALU_DEP_3) | instskip(SKIP_1) | instid1(VALU_DEP_4)
	v_lshrrev_b32_e32 v145, v135, v134
	v_add_nc_u32_e32 v135, v135, v96
	v_and_b32_e32 v134, v144, v134
	s_delay_alu instid0(VALU_DEP_3) | instskip(NEXT) | instid1(VALU_DEP_2)
	v_bfe_u32 v146, v145, 20, 1
	v_cmp_eq_u32_e64 s8, v134, v147
	s_delay_alu instid0(VALU_DEP_2) | instskip(NEXT) | instid1(VALU_DEP_1)
	v_add_nc_u32_e32 v144, -1, v146
	v_cndmask_b32_e64 v134, 0, v144, s8
	v_lshrrev_b32_e32 v144, 23, v145
	s_mov_b32 s8, exec_lo
	s_delay_alu instid0(VALU_DEP_2) | instskip(NEXT) | instid1(VALU_DEP_2)
	v_add_nc_u32_e32 v134, v134, v145
	v_xor_b32_e32 v144, 1, v144
	s_delay_alu instid0(VALU_DEP_2) | instskip(NEXT) | instid1(VALU_DEP_1)
	v_and_b32_e32 v96, 0xfffff, v134
	v_add_nc_u32_e32 v134, v96, v145
                                        ; implicit-def: $vgpr96
	s_delay_alu instid0(VALU_DEP_3)
	v_cmpx_ne_u32_e64 v135, v144
	s_xor_b32 s8, exec_lo, s8
; %bb.156:                              ;   in Loop: Header=BB2_85 Depth=2
	s_delay_alu instid0(VALU_DEP_2) | instskip(SKIP_2) | instid1(VALU_DEP_2)
	v_cmp_lt_u32_e32 vcc_lo, 0xffffff, v134
	v_sub_nc_u32_e32 v96, v135, v144
	v_cndmask_b32_e64 v135, 0, 1, vcc_lo
	v_add_co_ci_u32_e32 v96, vcc_lo, 0, v96, vcc_lo
	s_delay_alu instid0(VALU_DEP_2)
	v_lshrrev_b32_e32 v134, v135, v134
; %bb.157:                              ;   in Loop: Header=BB2_85 Depth=2
	s_and_not1_saveexec_b32 s8, s8
; %bb.158:                              ;   in Loop: Header=BB2_85 Depth=2
	s_delay_alu instid0(VALU_DEP_1)
	v_bfe_u32 v96, v134, 23, 1
; %bb.159:                              ;   in Loop: Header=BB2_85 Depth=2
	s_or_b32 exec_lo, exec_lo, s8
	v_lshrrev_b32_e32 v134, 20, v134
	s_delay_alu instid0(VALU_DEP_2) | instskip(SKIP_2) | instid1(VALU_DEP_2)
	v_cmp_gt_i32_e32 vcc_lo, 16, v96
	v_min_i32_e32 v135, 15, v96
	v_lshrrev_b32_e32 v97, 24, v97
	v_dual_cndmask_b32 v134, 7, v134 :: v_dual_lshlrev_b32 v135, 3, v135
	s_delay_alu instid0(VALU_DEP_2) | instskip(NEXT) | instid1(VALU_DEP_2)
	v_and_b32_e32 v97, 0x80, v97
	v_or_b32_e32 v96, v96, v134
	v_and_b32_e32 v144, 7, v134
	s_delay_alu instid0(VALU_DEP_2) | instskip(SKIP_1) | instid1(VALU_DEP_1)
	v_cmp_ne_u32_e32 vcc_lo, 0, v96
	v_and_b32_e32 v135, 0xf8, v135
	v_or3_b32 v97, v97, v135, v144
	s_delay_alu instid0(VALU_DEP_1) | instskip(NEXT) | instid1(VALU_DEP_1)
	v_lshlrev_b32_e32 v97, 8, v97
	v_cndmask_b32_e32 v96, 0, v97, vcc_lo
.LBB2_160:                              ;   in Loop: Header=BB2_85 Depth=2
	s_or_b32 exec_lo, exec_lo, s19
.LBB2_161:                              ;   in Loop: Header=BB2_85 Depth=2
	s_delay_alu instid0(SALU_CYCLE_1) | instskip(SKIP_3) | instid1(VALU_DEP_1)
	s_or_b32 exec_lo, exec_lo, s18
	v_lshrrev_b32_e32 v97, 16, v85
	s_mov_b32 s8, 0
	s_mov_b32 s19, exec_lo
                                        ; implicit-def: $sgpr18
	v_and_b32_e32 v135, 0xff, v97
	s_delay_alu instid0(VALU_DEP_1)
	v_cmpx_lt_i16_e64 0x7f, v135
	s_xor_b32 s19, exec_lo, s19
	s_cbranch_execnz .LBB2_207
; %bb.162:                              ;   in Loop: Header=BB2_85 Depth=2
	s_or_saveexec_b32 s19, s19
	v_mov_b32_e32 v134, s18
	s_xor_b32 exec_lo, exec_lo, s19
	s_cbranch_execnz .LBB2_210
.LBB2_163:                              ;   in Loop: Header=BB2_85 Depth=2
	s_or_b32 exec_lo, exec_lo, s19
	s_and_saveexec_b32 s18, s8
	s_cbranch_execz .LBB2_165
.LBB2_164:                              ;   in Loop: Header=BB2_85 Depth=2
	v_bfe_u32 v134, v85, 16, 3
	v_lshlrev_b32_e32 v145, 8, v85
	s_delay_alu instid0(VALU_DEP_2) | instskip(NEXT) | instid1(VALU_DEP_1)
	v_clz_i32_u32_e32 v135, v134
	v_min_u32_e32 v135, 32, v135
	s_delay_alu instid0(VALU_DEP_1) | instskip(SKIP_1) | instid1(VALU_DEP_2)
	v_subrev_nc_u32_e32 v144, 28, v135
	v_sub_nc_u32_e32 v135, 29, v135
	v_lshlrev_b32_e32 v97, v144, v97
	v_bfe_u32 v144, v85, 19, 4
	s_delay_alu instid0(VALU_DEP_2) | instskip(NEXT) | instid1(VALU_DEP_2)
	v_and_b32_e32 v97, 7, v97
	v_cmp_eq_u32_e32 vcc_lo, 0, v144
	v_cndmask_b32_e32 v135, v144, v135, vcc_lo
	s_delay_alu instid0(VALU_DEP_3) | instskip(SKIP_1) | instid1(VALU_DEP_3)
	v_cndmask_b32_e32 v97, v134, v97, vcc_lo
	v_and_b32_e32 v134, 0x80000000, v145
	v_lshl_add_u32 v135, v135, 23, 0x3b800000
	s_delay_alu instid0(VALU_DEP_3) | instskip(NEXT) | instid1(VALU_DEP_1)
	v_lshlrev_b32_e32 v97, 20, v97
	v_or3_b32 v134, v134, v135, v97
.LBB2_165:                              ;   in Loop: Header=BB2_85 Depth=2
	s_or_b32 exec_lo, exec_lo, s18
	s_delay_alu instid0(VALU_DEP_1) | instskip(NEXT) | instid1(VALU_DEP_1)
	v_mul_f32_e32 v134, v0, v134
	v_and_b32_e32 v97, 0x7f800000, v134
	s_delay_alu instid0(VALU_DEP_1)
	v_cmp_ne_u32_e32 vcc_lo, 0x7f800000, v97
	v_mov_b32_e32 v97, 0x80
	s_and_saveexec_b32 s18, vcc_lo
	s_cbranch_execz .LBB2_173
; %bb.166:                              ;   in Loop: Header=BB2_85 Depth=2
	v_mov_b32_e32 v97, 0
	s_mov_b32 s19, exec_lo
	v_cmpx_ne_u32_e32 0, v134
	s_cbranch_execz .LBB2_172
; %bb.167:                              ;   in Loop: Header=BB2_85 Depth=2
	v_bfe_u32 v97, v134, 23, 8
	s_delay_alu instid0(VALU_DEP_1) | instskip(SKIP_1) | instid1(VALU_DEP_2)
	v_sub_nc_u32_e32 v144, 0x78, v97
	v_cmp_gt_u32_e32 vcc_lo, 0x79, v97
	v_dual_cndmask_b32 v144, 0, v144 :: v_dual_and_b32 v135, 0x7fffff, v134
	s_delay_alu instid0(VALU_DEP_1) | instskip(SKIP_2) | instid1(VALU_DEP_4)
	v_or_b32_e32 v145, 0x800000, v135
	v_cmp_eq_u32_e32 vcc_lo, 0, v97
	v_add_nc_u32_e32 v97, 0xffffff89, v97
	v_cndmask_b32_e64 v144, v144, 0x77, vcc_lo
	s_delay_alu instid0(VALU_DEP_2) | instskip(SKIP_1) | instid1(VALU_DEP_3)
	v_cndmask_b32_e64 v97, v97, 0xffffff8a, vcc_lo
	v_cndmask_b32_e32 v135, v145, v135, vcc_lo
	v_lshl_add_u32 v145, 0x100000, v144, -1
	v_lshlrev_b32_e64 v148, v144, 0x80000
	s_delay_alu instid0(VALU_DEP_3) | instskip(SKIP_1) | instid1(VALU_DEP_4)
	v_lshrrev_b32_e32 v146, v144, v135
	v_add_nc_u32_e32 v144, v144, v97
	v_and_b32_e32 v135, v145, v135
	s_delay_alu instid0(VALU_DEP_3) | instskip(NEXT) | instid1(VALU_DEP_2)
	v_bfe_u32 v147, v146, 20, 1
	v_cmp_eq_u32_e64 s8, v135, v148
	s_delay_alu instid0(VALU_DEP_2) | instskip(NEXT) | instid1(VALU_DEP_1)
	v_add_nc_u32_e32 v145, -1, v147
	v_cndmask_b32_e64 v135, 0, v145, s8
	v_lshrrev_b32_e32 v145, 23, v146
	s_mov_b32 s8, exec_lo
	s_delay_alu instid0(VALU_DEP_2) | instskip(NEXT) | instid1(VALU_DEP_2)
	v_add_nc_u32_e32 v135, v135, v146
	v_xor_b32_e32 v145, 1, v145
	s_delay_alu instid0(VALU_DEP_2) | instskip(NEXT) | instid1(VALU_DEP_1)
	v_and_b32_e32 v97, 0xfffff, v135
	v_add_nc_u32_e32 v135, v97, v146
                                        ; implicit-def: $vgpr97
	s_delay_alu instid0(VALU_DEP_3)
	v_cmpx_ne_u32_e64 v144, v145
	s_xor_b32 s8, exec_lo, s8
; %bb.168:                              ;   in Loop: Header=BB2_85 Depth=2
	s_delay_alu instid0(VALU_DEP_2) | instskip(SKIP_2) | instid1(VALU_DEP_2)
	v_cmp_lt_u32_e32 vcc_lo, 0xffffff, v135
	v_sub_nc_u32_e32 v97, v144, v145
	v_cndmask_b32_e64 v144, 0, 1, vcc_lo
	v_add_co_ci_u32_e32 v97, vcc_lo, 0, v97, vcc_lo
	s_delay_alu instid0(VALU_DEP_2)
	v_lshrrev_b32_e32 v135, v144, v135
; %bb.169:                              ;   in Loop: Header=BB2_85 Depth=2
	s_and_not1_saveexec_b32 s8, s8
; %bb.170:                              ;   in Loop: Header=BB2_85 Depth=2
	s_delay_alu instid0(VALU_DEP_1)
	v_bfe_u32 v97, v135, 23, 1
; %bb.171:                              ;   in Loop: Header=BB2_85 Depth=2
	s_or_b32 exec_lo, exec_lo, s8
	v_lshrrev_b32_e32 v135, 20, v135
	s_delay_alu instid0(VALU_DEP_2) | instskip(SKIP_2) | instid1(VALU_DEP_2)
	v_cmp_gt_i32_e32 vcc_lo, 16, v97
	v_min_i32_e32 v144, 15, v97
	v_lshrrev_b32_e32 v134, 24, v134
	v_dual_cndmask_b32 v135, 7, v135 :: v_dual_lshlrev_b32 v144, 3, v144
	s_delay_alu instid0(VALU_DEP_2) | instskip(NEXT) | instid1(VALU_DEP_2)
	v_and_b32_e32 v134, 0x80, v134
	v_or_b32_e32 v97, v97, v135
	v_and_b32_e32 v145, 7, v135
	s_delay_alu instid0(VALU_DEP_2) | instskip(SKIP_1) | instid1(VALU_DEP_1)
	v_cmp_ne_u32_e32 vcc_lo, 0, v97
	v_and_b32_e32 v144, 0xf8, v144
	v_or3_b32 v134, v144, v134, v145
	s_delay_alu instid0(VALU_DEP_1)
	v_cndmask_b32_e32 v97, 0, v134, vcc_lo
.LBB2_172:                              ;   in Loop: Header=BB2_85 Depth=2
	s_or_b32 exec_lo, exec_lo, s19
.LBB2_173:                              ;   in Loop: Header=BB2_85 Depth=2
	s_delay_alu instid0(SALU_CYCLE_1) | instskip(SKIP_3) | instid1(VALU_DEP_1)
	s_or_b32 exec_lo, exec_lo, s18
	v_lshrrev_b32_e32 v134, 24, v85
	s_mov_b32 s8, 0
	s_mov_b32 s19, exec_lo
                                        ; implicit-def: $sgpr18
	v_cmpx_lt_i16_e64 0x7f, v134
	s_xor_b32 s19, exec_lo, s19
	s_cbranch_execnz .LBB2_211
; %bb.174:                              ;   in Loop: Header=BB2_85 Depth=2
	s_or_saveexec_b32 s19, s19
	v_mov_b32_e32 v135, s18
	s_xor_b32 exec_lo, exec_lo, s19
	s_cbranch_execnz .LBB2_214
.LBB2_175:                              ;   in Loop: Header=BB2_85 Depth=2
	s_or_b32 exec_lo, exec_lo, s19
	s_and_saveexec_b32 s18, s8
	s_cbranch_execz .LBB2_177
.LBB2_176:                              ;   in Loop: Header=BB2_85 Depth=2
	v_bfe_u32 v135, v85, 24, 3
	s_delay_alu instid0(VALU_DEP_1) | instskip(NEXT) | instid1(VALU_DEP_1)
	v_clz_i32_u32_e32 v144, v135
	v_min_u32_e32 v144, 32, v144
	s_delay_alu instid0(VALU_DEP_1) | instskip(SKIP_1) | instid1(VALU_DEP_2)
	v_subrev_nc_u32_e32 v145, 28, v144
	v_sub_nc_u32_e32 v144, 29, v144
	v_lshlrev_b32_e32 v134, v145, v134
	v_bfe_u32 v145, v85, 27, 4
	v_and_b32_e32 v85, 0x80000000, v85
	s_delay_alu instid0(VALU_DEP_3) | instskip(NEXT) | instid1(VALU_DEP_3)
	v_and_b32_e32 v134, 7, v134
	v_cmp_eq_u32_e32 vcc_lo, 0, v145
	v_cndmask_b32_e32 v144, v145, v144, vcc_lo
	s_delay_alu instid0(VALU_DEP_3) | instskip(NEXT) | instid1(VALU_DEP_2)
	v_cndmask_b32_e32 v134, v135, v134, vcc_lo
	v_lshl_add_u32 v135, v144, 23, 0x3b800000
	s_delay_alu instid0(VALU_DEP_2) | instskip(NEXT) | instid1(VALU_DEP_1)
	v_lshlrev_b32_e32 v134, 20, v134
	v_or3_b32 v135, v85, v135, v134
.LBB2_177:                              ;   in Loop: Header=BB2_85 Depth=2
	s_or_b32 exec_lo, exec_lo, s18
	s_delay_alu instid0(VALU_DEP_1) | instskip(NEXT) | instid1(VALU_DEP_1)
	v_mul_f32_e32 v85, v0, v135
	v_and_b32_e32 v134, 0x7f800000, v85
	s_delay_alu instid0(VALU_DEP_1)
	v_cmp_ne_u32_e32 vcc_lo, 0x7f800000, v134
	v_mov_b32_e32 v134, 0x8000
	s_and_saveexec_b32 s18, vcc_lo
	s_cbranch_execz .LBB2_84
; %bb.178:                              ;   in Loop: Header=BB2_85 Depth=2
	v_mov_b32_e32 v134, 0
	s_mov_b32 s19, exec_lo
	v_cmpx_ne_u32_e32 0, v85
	s_cbranch_execz .LBB2_83
; %bb.179:                              ;   in Loop: Header=BB2_85 Depth=2
	v_bfe_u32 v134, v85, 23, 8
	s_delay_alu instid0(VALU_DEP_1) | instskip(SKIP_1) | instid1(VALU_DEP_2)
	v_sub_nc_u32_e32 v144, 0x78, v134
	v_cmp_gt_u32_e32 vcc_lo, 0x79, v134
	v_dual_cndmask_b32 v144, 0, v144 :: v_dual_and_b32 v135, 0x7fffff, v85
	s_delay_alu instid0(VALU_DEP_1) | instskip(SKIP_2) | instid1(VALU_DEP_4)
	v_or_b32_e32 v145, 0x800000, v135
	v_cmp_eq_u32_e32 vcc_lo, 0, v134
	v_add_nc_u32_e32 v134, 0xffffff89, v134
	v_cndmask_b32_e64 v144, v144, 0x77, vcc_lo
	s_delay_alu instid0(VALU_DEP_4) | instskip(NEXT) | instid1(VALU_DEP_3)
	v_cndmask_b32_e32 v135, v145, v135, vcc_lo
	v_cndmask_b32_e64 v134, v134, 0xffffff8a, vcc_lo
	s_delay_alu instid0(VALU_DEP_3) | instskip(NEXT) | instid1(VALU_DEP_3)
	v_lshl_add_u32 v145, 0x100000, v144, -1
	v_lshrrev_b32_e32 v146, v144, v135
	v_lshlrev_b32_e64 v148, v144, 0x80000
	s_delay_alu instid0(VALU_DEP_4) | instskip(NEXT) | instid1(VALU_DEP_4)
	v_add_nc_u32_e32 v144, v144, v134
	v_and_b32_e32 v135, v145, v135
	s_delay_alu instid0(VALU_DEP_4) | instskip(NEXT) | instid1(VALU_DEP_2)
	v_bfe_u32 v147, v146, 20, 1
	v_cmp_eq_u32_e64 s8, v135, v148
	s_delay_alu instid0(VALU_DEP_2) | instskip(NEXT) | instid1(VALU_DEP_1)
	v_add_nc_u32_e32 v145, -1, v147
	v_cndmask_b32_e64 v135, 0, v145, s8
	v_lshrrev_b32_e32 v145, 23, v146
	s_mov_b32 s8, exec_lo
	s_delay_alu instid0(VALU_DEP_2) | instskip(NEXT) | instid1(VALU_DEP_2)
	v_add_nc_u32_e32 v135, v135, v146
	v_xor_b32_e32 v145, 1, v145
	s_delay_alu instid0(VALU_DEP_2) | instskip(NEXT) | instid1(VALU_DEP_1)
	v_and_b32_e32 v134, 0xfffff, v135
	v_add_nc_u32_e32 v135, v134, v146
                                        ; implicit-def: $vgpr134
	s_delay_alu instid0(VALU_DEP_3)
	v_cmpx_ne_u32_e64 v144, v145
	s_xor_b32 s8, exec_lo, s8
; %bb.180:                              ;   in Loop: Header=BB2_85 Depth=2
	s_delay_alu instid0(VALU_DEP_2) | instskip(SKIP_2) | instid1(VALU_DEP_2)
	v_cmp_lt_u32_e32 vcc_lo, 0xffffff, v135
	v_sub_nc_u32_e32 v134, v144, v145
	v_cndmask_b32_e64 v144, 0, 1, vcc_lo
	v_add_co_ci_u32_e32 v134, vcc_lo, 0, v134, vcc_lo
	s_delay_alu instid0(VALU_DEP_2)
	v_lshrrev_b32_e32 v135, v144, v135
; %bb.181:                              ;   in Loop: Header=BB2_85 Depth=2
	s_and_not1_saveexec_b32 s8, s8
	s_cbranch_execz .LBB2_82
; %bb.182:                              ;   in Loop: Header=BB2_85 Depth=2
	s_delay_alu instid0(VALU_DEP_1)
	v_bfe_u32 v134, v135, 23, 1
	s_branch .LBB2_82
.LBB2_183:                              ;   in Loop: Header=BB2_85 Depth=2
	s_mov_b32 s8, -1
	s_mov_b32 s20, exec_lo
                                        ; implicit-def: $sgpr18
	v_cmpx_eq_u16_e32 0x80, v19
; %bb.184:                              ;   in Loop: Header=BB2_85 Depth=2
	s_mov_b32 s18, 0x7f800001
	s_xor_b32 s8, exec_lo, -1
; %bb.185:                              ;   in Loop: Header=BB2_85 Depth=2
	s_or_b32 exec_lo, exec_lo, s20
	s_delay_alu instid0(SALU_CYCLE_1)
	s_and_b32 s8, s8, exec_lo
                                        ; implicit-def: $vgpr19
	s_or_saveexec_b32 s19, s19
	v_mov_b32_e32 v17, s18
	s_xor_b32 exec_lo, exec_lo, s19
	s_cbranch_execz .LBB2_91
.LBB2_186:                              ;   in Loop: Header=BB2_85 Depth=2
	v_cmp_ne_u16_e32 vcc_lo, 0, v19
	v_mov_b32_e32 v17, 0
	s_and_not1_b32 s8, s8, exec_lo
	s_and_b32 s18, vcc_lo, exec_lo
	s_delay_alu instid0(SALU_CYCLE_1)
	s_or_b32 s8, s8, s18
	s_or_b32 exec_lo, exec_lo, s19
	s_and_saveexec_b32 s18, s8
	s_cbranch_execnz .LBB2_92
	s_branch .LBB2_93
.LBB2_187:                              ;   in Loop: Header=BB2_85 Depth=2
	s_mov_b32 s8, -1
	s_mov_b32 s20, exec_lo
                                        ; implicit-def: $sgpr18
	v_cmpx_eq_u16_e32 0x80, v19
; %bb.188:                              ;   in Loop: Header=BB2_85 Depth=2
	s_mov_b32 s18, 0x7f800001
	s_xor_b32 s8, exec_lo, -1
; %bb.189:                              ;   in Loop: Header=BB2_85 Depth=2
	s_or_b32 exec_lo, exec_lo, s20
	s_delay_alu instid0(SALU_CYCLE_1)
	s_and_b32 s8, s8, exec_lo
	s_or_saveexec_b32 s19, s19
	v_mov_b32_e32 v20, s18
	s_xor_b32 exec_lo, exec_lo, s19
	s_cbranch_execz .LBB2_103
.LBB2_190:                              ;   in Loop: Header=BB2_85 Depth=2
	v_cmp_ne_u16_e32 vcc_lo, 0, v19
	v_mov_b32_e32 v20, 0
	s_and_not1_b32 s8, s8, exec_lo
	s_and_b32 s18, vcc_lo, exec_lo
	s_delay_alu instid0(SALU_CYCLE_1)
	s_or_b32 s8, s8, s18
	s_or_b32 exec_lo, exec_lo, s19
	s_and_saveexec_b32 s18, s8
	s_cbranch_execnz .LBB2_104
	s_branch .LBB2_105
.LBB2_191:                              ;   in Loop: Header=BB2_85 Depth=2
	s_mov_b32 s8, -1
	s_mov_b32 s20, exec_lo
                                        ; implicit-def: $sgpr18
	v_cmpx_eq_u16_e32 0x80, v97
; %bb.192:                              ;   in Loop: Header=BB2_85 Depth=2
	s_mov_b32 s18, 0x7f800001
	s_xor_b32 s8, exec_lo, -1
; %bb.193:                              ;   in Loop: Header=BB2_85 Depth=2
	s_or_b32 exec_lo, exec_lo, s20
	s_delay_alu instid0(SALU_CYCLE_1)
	s_and_b32 s8, s8, exec_lo
                                        ; implicit-def: $vgpr97
	s_or_saveexec_b32 s19, s19
	v_mov_b32_e32 v85, s18
	s_xor_b32 exec_lo, exec_lo, s19
	s_cbranch_execz .LBB2_115
.LBB2_194:                              ;   in Loop: Header=BB2_85 Depth=2
	v_cmp_ne_u16_e32 vcc_lo, 0, v97
	v_mov_b32_e32 v85, 0
	s_and_not1_b32 s8, s8, exec_lo
	s_and_b32 s18, vcc_lo, exec_lo
	s_delay_alu instid0(SALU_CYCLE_1)
	s_or_b32 s8, s8, s18
	s_or_b32 exec_lo, exec_lo, s19
	s_and_saveexec_b32 s18, s8
	s_cbranch_execnz .LBB2_116
	s_branch .LBB2_117
.LBB2_195:                              ;   in Loop: Header=BB2_85 Depth=2
	s_mov_b32 s8, -1
	s_mov_b32 s20, exec_lo
                                        ; implicit-def: $sgpr18
	v_cmpx_eq_u16_e32 0x80, v85
; %bb.196:                              ;   in Loop: Header=BB2_85 Depth=2
	s_mov_b32 s18, 0x7f800001
	s_xor_b32 s8, exec_lo, -1
; %bb.197:                              ;   in Loop: Header=BB2_85 Depth=2
	s_or_b32 exec_lo, exec_lo, s20
	s_delay_alu instid0(SALU_CYCLE_1)
	s_and_b32 s8, s8, exec_lo
	s_or_saveexec_b32 s19, s19
	v_mov_b32_e32 v97, s18
	s_xor_b32 exec_lo, exec_lo, s19
	s_cbranch_execz .LBB2_127
.LBB2_198:                              ;   in Loop: Header=BB2_85 Depth=2
	v_cmp_ne_u16_e32 vcc_lo, 0, v85
	v_mov_b32_e32 v97, 0
	s_and_not1_b32 s8, s8, exec_lo
	s_and_b32 s18, vcc_lo, exec_lo
	s_delay_alu instid0(SALU_CYCLE_1)
	s_or_b32 s8, s8, s18
	s_or_b32 exec_lo, exec_lo, s19
	s_and_saveexec_b32 s18, s8
	s_cbranch_execnz .LBB2_128
	s_branch .LBB2_129
.LBB2_199:                              ;   in Loop: Header=BB2_85 Depth=2
	s_mov_b32 s8, -1
	s_mov_b32 s20, exec_lo
                                        ; implicit-def: $sgpr18
	v_cmpx_eq_u16_e32 0x80, v96
; %bb.200:                              ;   in Loop: Header=BB2_85 Depth=2
	s_mov_b32 s18, 0x7f800001
	s_xor_b32 s8, exec_lo, -1
; %bb.201:                              ;   in Loop: Header=BB2_85 Depth=2
	s_or_b32 exec_lo, exec_lo, s20
	s_delay_alu instid0(SALU_CYCLE_1)
	s_and_b32 s8, s8, exec_lo
                                        ; implicit-def: $vgpr96
	s_or_saveexec_b32 s19, s19
	v_mov_b32_e32 v87, s18
	s_xor_b32 exec_lo, exec_lo, s19
	s_cbranch_execz .LBB2_139
.LBB2_202:                              ;   in Loop: Header=BB2_85 Depth=2
	v_cmp_ne_u16_e32 vcc_lo, 0, v96
	v_mov_b32_e32 v87, 0
	s_and_not1_b32 s8, s8, exec_lo
	s_and_b32 s18, vcc_lo, exec_lo
	s_delay_alu instid0(SALU_CYCLE_1)
	s_or_b32 s8, s8, s18
	s_or_b32 exec_lo, exec_lo, s19
	s_and_saveexec_b32 s18, s8
	s_cbranch_execnz .LBB2_140
	s_branch .LBB2_141
.LBB2_203:                              ;   in Loop: Header=BB2_85 Depth=2
	s_mov_b32 s8, -1
	s_mov_b32 s20, exec_lo
                                        ; implicit-def: $sgpr18
	v_cmpx_eq_u16_e32 0x80, v96
; %bb.204:                              ;   in Loop: Header=BB2_85 Depth=2
	s_mov_b32 s18, 0x7f800001
	s_xor_b32 s8, exec_lo, -1
; %bb.205:                              ;   in Loop: Header=BB2_85 Depth=2
	s_or_b32 exec_lo, exec_lo, s20
	s_delay_alu instid0(SALU_CYCLE_1)
	s_and_b32 s8, s8, exec_lo
	s_or_saveexec_b32 s19, s19
	v_mov_b32_e32 v97, s18
	s_xor_b32 exec_lo, exec_lo, s19
	s_cbranch_execz .LBB2_151
.LBB2_206:                              ;   in Loop: Header=BB2_85 Depth=2
	v_cmp_ne_u16_e32 vcc_lo, 0, v96
	v_mov_b32_e32 v97, 0
	s_and_not1_b32 s8, s8, exec_lo
	s_and_b32 s18, vcc_lo, exec_lo
	s_delay_alu instid0(SALU_CYCLE_1)
	s_or_b32 s8, s8, s18
	s_or_b32 exec_lo, exec_lo, s19
	s_and_saveexec_b32 s18, s8
	s_cbranch_execnz .LBB2_152
	s_branch .LBB2_153
.LBB2_207:                              ;   in Loop: Header=BB2_85 Depth=2
	s_mov_b32 s8, -1
	s_mov_b32 s20, exec_lo
                                        ; implicit-def: $sgpr18
	v_cmpx_eq_u16_e64 0x80, v135
; %bb.208:                              ;   in Loop: Header=BB2_85 Depth=2
	s_mov_b32 s18, 0x7f800001
	s_xor_b32 s8, exec_lo, -1
; %bb.209:                              ;   in Loop: Header=BB2_85 Depth=2
	s_or_b32 exec_lo, exec_lo, s20
	s_delay_alu instid0(SALU_CYCLE_1)
	s_and_b32 s8, s8, exec_lo
                                        ; implicit-def: $vgpr135
	s_or_saveexec_b32 s19, s19
	v_mov_b32_e32 v134, s18
	s_xor_b32 exec_lo, exec_lo, s19
	s_cbranch_execz .LBB2_163
.LBB2_210:                              ;   in Loop: Header=BB2_85 Depth=2
	v_cmp_ne_u16_e64 vcc_lo, 0, v135
	v_mov_b32_e32 v134, 0
	s_and_not1_b32 s8, s8, exec_lo
	s_delay_alu instid0(VALU_DEP_2) | instskip(NEXT) | instid1(SALU_CYCLE_1)
	s_and_b32 s18, vcc_lo, exec_lo
	s_or_b32 s8, s8, s18
	s_or_b32 exec_lo, exec_lo, s19
	s_and_saveexec_b32 s18, s8
	s_cbranch_execnz .LBB2_164
	s_branch .LBB2_165
.LBB2_211:                              ;   in Loop: Header=BB2_85 Depth=2
	s_mov_b32 s8, -1
	s_mov_b32 s20, exec_lo
                                        ; implicit-def: $sgpr18
	v_cmpx_eq_u16_e64 0x80, v134
; %bb.212:                              ;   in Loop: Header=BB2_85 Depth=2
	s_mov_b32 s18, 0x7f800001
	s_xor_b32 s8, exec_lo, -1
; %bb.213:                              ;   in Loop: Header=BB2_85 Depth=2
	s_or_b32 exec_lo, exec_lo, s20
	s_delay_alu instid0(SALU_CYCLE_1)
	s_and_b32 s8, s8, exec_lo
	s_or_saveexec_b32 s19, s19
	v_mov_b32_e32 v135, s18
	s_xor_b32 exec_lo, exec_lo, s19
	s_cbranch_execz .LBB2_175
.LBB2_214:                              ;   in Loop: Header=BB2_85 Depth=2
	v_cmp_ne_u16_e64 vcc_lo, 0, v134
	v_mov_b32_e32 v135, 0
	s_and_not1_b32 s8, s8, exec_lo
	s_delay_alu instid0(VALU_DEP_2) | instskip(NEXT) | instid1(SALU_CYCLE_1)
	s_and_b32 s18, vcc_lo, exec_lo
	s_or_b32 s8, s8, s18
	s_or_b32 exec_lo, exec_lo, s19
	s_and_saveexec_b32 s18, s8
	s_cbranch_execnz .LBB2_176
	s_branch .LBB2_177
.LBB2_215:                              ;   in Loop: Header=BB2_40 Depth=1
	s_or_b32 exec_lo, exec_lo, s17
.LBB2_216:                              ;   in Loop: Header=BB2_40 Depth=1
	s_delay_alu instid0(SALU_CYCLE_1) | instskip(SKIP_2) | instid1(VALU_DEP_2)
	s_or_b32 exec_lo, exec_lo, s9
	v_and_b32_e32 v54, 0x7ffffff8, v21
	v_cmp_gt_i32_e64 s8, s14, v70
	v_cmp_eq_u64_e32 vcc_lo, 0x7ffffff8, v[54:55]
	s_delay_alu instid0(VALU_DEP_2) | instskip(NEXT) | instid1(SALU_CYCLE_1)
	s_and_b32 s8, vcc_lo, s8
	s_and_saveexec_b32 s9, s8
	s_cbranch_execz .LBB2_219
; %bb.217:                              ;   in Loop: Header=BB2_40 Depth=1
	v_dual_mov_b32 v54, v21 :: v_dual_and_b32 v17, 7, v21
	v_ashrrev_i32_e32 v71, 31, v70
	s_mov_b32 s17, 0
	s_delay_alu instid0(VALU_DEP_2) | instskip(SKIP_1) | instid1(VALU_DEP_2)
	v_mul_lo_u32 v17, v17, s14
	s_waitcnt vmcnt(0) lgkmcnt(0)
	v_lshlrev_b64 v[19:20], 4, v[70:71]
	s_delay_alu instid0(VALU_DEP_2) | instskip(NEXT) | instid1(VALU_DEP_1)
	v_ashrrev_i32_e32 v18, 31, v17
	v_lshlrev_b64 v[17:18], 4, v[17:18]
	s_delay_alu instid0(VALU_DEP_1) | instskip(NEXT) | instid1(VALU_DEP_2)
	v_add_co_u32 v19, vcc_lo, v19, v17
	v_add_co_ci_u32_e32 v20, vcc_lo, v20, v18, vcc_lo
	v_add_co_u32 v17, vcc_lo, 0, 0
	v_add_co_ci_u32_e32 v18, vcc_lo, 1, v54, vcc_lo
	s_delay_alu instid0(VALU_DEP_4) | instskip(NEXT) | instid1(VALU_DEP_4)
	v_add_co_u32 v80, vcc_lo, v38, v19
	v_add_co_ci_u32_e32 v81, vcc_lo, v39, v20, vcc_lo
.LBB2_218:                              ;   Parent Loop BB2_40 Depth=1
                                        ; =>  This Inner Loop Header: Depth=2
	s_delay_alu instid0(VALU_DEP_4) | instskip(NEXT) | instid1(VALU_DEP_4)
	v_dual_mov_b32 v19, v17 :: v_dual_add_nc_u32 v70, v70, v1
	v_mov_b32_e32 v20, v18
	s_delay_alu instid0(VALU_DEP_2) | instskip(SKIP_2) | instid1(VALU_DEP_1)
	v_cmp_le_i32_e32 vcc_lo, s14, v70
	global_store_b128 v[80:81], v[17:20], off
	v_add_co_u32 v80, s8, v80, v68
	v_add_co_ci_u32_e64 v81, s8, v81, v69, s8
	s_or_b32 s17, vcc_lo, s17
	s_delay_alu instid0(SALU_CYCLE_1)
	s_and_not1_b32 exec_lo, exec_lo, s17
	s_cbranch_execnz .LBB2_218
.LBB2_219:                              ;   in Loop: Header=BB2_40 Depth=1
	s_or_b32 exec_lo, exec_lo, s9
	v_add_co_u32 v134, vcc_lo, v9, v25
	v_add_co_ci_u32_e32 v135, vcc_lo, v10, v26, vcc_lo
	v_add_co_u32 v70, vcc_lo, v21, 1
	v_add_co_ci_u32_e32 v71, vcc_lo, 0, v22, vcc_lo
	s_and_not1_b32 vcc_lo, exec_lo, s16
	s_cbranch_vccnz .LBB2_631
; %bb.220:                              ;   in Loop: Header=BB2_40 Depth=1
	v_add_co_u32 v80, vcc_lo, v115, v134
	v_add_co_ci_u32_e32 v81, vcc_lo, v116, v135, vcc_lo
	v_add_nc_u16 v144, v21, 1
	s_mov_b32 s17, 2
.LBB2_221:                              ;   Parent Loop BB2_40 Depth=1
                                        ; =>  This Loop Header: Depth=2
                                        ;       Child Loop BB2_228 Depth 3
                                        ;       Child Loop BB2_248 Depth 3
	;; [unrolled: 1-line block ×3, first 2 shown]
                                        ;         Child Loop BB2_274 Depth 4
                                        ;       Child Loop BB2_612 Depth 3
                                        ;       Child Loop BB2_629 Depth 3
	s_delay_alu instid0(SALU_CYCLE_1) | instskip(NEXT) | instid1(SALU_CYCLE_1)
	s_sub_i32 s8, s10, s17
	s_ashr_i32 s9, s8, 31
	s_delay_alu instid0(SALU_CYCLE_1) | instskip(NEXT) | instid1(SALU_CYCLE_1)
	s_lshl_b64 s[8:9], s[8:9], 2
	v_add_co_u32 v17, vcc_lo, v23, s8
	v_add_co_ci_u32_e32 v18, vcc_lo, s9, v24, vcc_lo
	s_waitcnt vmcnt(0) lgkmcnt(0)
	flat_load_b32 v19, v[17:18]
	s_and_saveexec_b32 s8, s1
	s_cbranch_execz .LBB2_239
; %bb.222:                              ;   in Loop: Header=BB2_221 Depth=2
	v_add_co_u32 v17, vcc_lo, v15, 1
	v_add_co_ci_u32_e32 v18, vcc_lo, 0, v16, vcc_lo
	v_add_co_u32 v20, vcc_lo, v52, 8
	v_add_co_ci_u32_e32 v21, vcc_lo, 0, v53, vcc_lo
	s_mov_b32 s9, exec_lo
	s_delay_alu instid0(VALU_DEP_1)
	v_cmpx_lt_u64_e64 v[20:21], v[17:18]
	s_cbranch_execz .LBB2_236
; %bb.223:                              ;   in Loop: Header=BB2_221 Depth=2
	s_sleep 1
	flat_load_b64 v[52:53], v[50:51] glc
	v_cmp_eq_u32_e32 vcc_lo, 0, v131
	s_and_saveexec_b32 s18, vcc_lo
	s_cbranch_execz .LBB2_235
; %bb.224:                              ;   in Loop: Header=BB2_221 Depth=2
	v_cndmask_b32_e64 v16, 0, 1, vcc_lo
	s_mov_b32 s19, 0
                                        ; implicit-def: $sgpr20
	s_branch .LBB2_228
.LBB2_225:                              ;   in Loop: Header=BB2_228 Depth=3
	s_or_b32 exec_lo, exec_lo, s23
	s_delay_alu instid0(SALU_CYCLE_1)
	s_or_not1_b32 s23, s24, exec_lo
.LBB2_226:                              ;   in Loop: Header=BB2_228 Depth=3
	s_or_b32 exec_lo, exec_lo, s22
	s_xor_b32 s22, s23, -1
	s_and_not1_b32 s20, s20, exec_lo
	s_and_b32 s22, s22, exec_lo
	s_delay_alu instid0(SALU_CYCLE_1)
	s_or_b32 s20, s20, s22
.LBB2_227:                              ;   in Loop: Header=BB2_228 Depth=3
	s_or_b32 exec_lo, exec_lo, s21
	s_delay_alu instid0(SALU_CYCLE_1) | instskip(NEXT) | instid1(SALU_CYCLE_1)
	s_and_b32 s21, exec_lo, s20
	s_or_b32 s19, s21, s19
	s_delay_alu instid0(SALU_CYCLE_1)
	s_and_not1_b32 exec_lo, exec_lo, s19
	s_cbranch_execz .LBB2_234
.LBB2_228:                              ;   Parent Loop BB2_40 Depth=1
                                        ;     Parent Loop BB2_221 Depth=2
                                        ; =>    This Inner Loop Header: Depth=3
	s_waitcnt vmcnt(0) lgkmcnt(0)
	v_add_co_u32 v20, vcc_lo, v52, 8
	v_add_co_ci_u32_e32 v21, vcc_lo, 0, v53, vcc_lo
	v_mov_b32_e32 v131, 0
	s_or_b32 s20, s20, exec_lo
	s_mov_b32 s21, exec_lo
	s_delay_alu instid0(VALU_DEP_2)
	v_cmpx_lt_u64_e64 v[20:21], v[17:18]
	s_cbranch_execz .LBB2_227
; %bb.229:                              ;   in Loop: Header=BB2_228 Depth=3
	s_sleep 1
	flat_load_b64 v[52:53], v[50:51] glc
	v_dual_mov_b32 v131, 0 :: v_dual_add_nc_u32 v16, 1, v16
	s_mov_b32 s23, -1
	s_mov_b32 s22, exec_lo
	s_delay_alu instid0(VALU_DEP_1)
	v_cmpx_eq_u32_e32 0x2710, v16
	s_cbranch_execz .LBB2_226
; %bb.230:                              ;   in Loop: Header=BB2_228 Depth=3
	s_cbranch_execnz .LBB2_1037
; %bb.231:                              ;   in Loop: Header=BB2_228 Depth=3
	ds_load_b64 v[20:21], v0
	v_dual_mov_b32 v16, 0 :: v_dual_mov_b32 v131, 0
	s_mov_b32 s24, -1
	s_mov_b32 s23, exec_lo
	s_waitcnt vmcnt(0) lgkmcnt(0)
	s_waitcnt_vscnt null, 0x0
	flat_load_b32 v20, v[20:21] glc
	s_waitcnt vmcnt(0) lgkmcnt(0)
	buffer_gl1_inv
	buffer_gl0_inv
	v_cmpx_ne_u32_e32 0, v20
	s_cbranch_execz .LBB2_225
; %bb.232:                              ;   in Loop: Header=BB2_228 Depth=3
	ds_store_b32 v0, v20
	s_cbranch_execnz .LBB2_1064
; %bb.233:                              ;   in Loop: Header=BB2_228 Depth=3
	v_mov_b32_e32 v131, 1
	s_xor_b32 s24, exec_lo, -1
	s_branch .LBB2_225
.LBB2_234:                              ;   in Loop: Header=BB2_221 Depth=2
	s_or_b32 exec_lo, exec_lo, s19
.LBB2_235:                              ;   in Loop: Header=BB2_221 Depth=2
	s_delay_alu instid0(SALU_CYCLE_1)
	s_or_b32 exec_lo, exec_lo, s18
.LBB2_236:                              ;   in Loop: Header=BB2_221 Depth=2
	s_delay_alu instid0(SALU_CYCLE_1)
	s_or_b32 exec_lo, exec_lo, s9
	s_and_saveexec_b32 s9, s2
	s_cbranch_execz .LBB2_238
; %bb.237:                              ;   in Loop: Header=BB2_221 Depth=2
	v_and_b32_e32 v54, 0x7ffffff8, v15
	v_and_b32_e32 v16, 7, v15
	s_delay_alu instid0(VALU_DEP_2) | instskip(NEXT) | instid1(VALU_DEP_2)
	v_cmp_eq_u64_e32 vcc_lo, 0x7ffffff8, v[54:55]
	v_mad_u64_u32 v[20:21], null, v16, 24, v[13:14]
	v_cndmask_b32_e64 v15, v133, s11, vcc_lo
	s_delay_alu instid0(VALU_DEP_1)
	v_ashrrev_i32_e32 v16, 31, v15
	flat_store_b64 v[20:21], v[15:16] offset:8 dlc
	s_waitcnt_vscnt null, 0x0
.LBB2_238:                              ;   in Loop: Header=BB2_221 Depth=2
	s_or_b32 exec_lo, exec_lo, s9
	v_dual_mov_b32 v15, v17 :: v_dual_mov_b32 v16, v18
.LBB2_239:                              ;   in Loop: Header=BB2_221 Depth=2
	s_or_b32 exec_lo, exec_lo, s8
	s_and_saveexec_b32 s8, s3
	s_cbranch_execz .LBB2_261
; %bb.240:                              ;   in Loop: Header=BB2_221 Depth=2
	s_and_saveexec_b32 s9, s4
	s_delay_alu instid0(SALU_CYCLE_1)
	s_xor_b32 s9, exec_lo, s9
	s_cbranch_execz .LBB2_258
; %bb.241:                              ;   in Loop: Header=BB2_221 Depth=2
	s_and_saveexec_b32 s18, s5
	s_cbranch_execz .LBB2_257
; %bb.242:                              ;   in Loop: Header=BB2_221 Depth=2
	s_mov_b32 s20, exec_lo
	s_mov_b32 s19, exec_lo
	v_mbcnt_lo_u32_b32 v17, s20, 0
	s_waitcnt vmcnt(0) lgkmcnt(0)
	s_waitcnt_vscnt null, 0x0
	buffer_gl1_inv
	buffer_gl0_inv
	v_cmpx_eq_u32_e32 0, v17
	s_cbranch_execz .LBB2_244
; %bb.243:                              ;   in Loop: Header=BB2_221 Depth=2
	s_bcnt1_i32_b32 s20, s20
	s_delay_alu instid0(SALU_CYCLE_1)
	v_mov_b32_e32 v54, s20
	ds_add_u64 v0, v[54:55]
	s_cbranch_execnz .LBB2_1062
.LBB2_244:                              ;   in Loop: Header=BB2_221 Depth=2
	s_or_b32 exec_lo, exec_lo, s19
	s_cbranch_execnz .LBB2_1056
; %bb.245:                              ;   in Loop: Header=BB2_221 Depth=2
	ds_load_b64 v[17:18], v0
	v_add_co_u32 v2, vcc_lo, v2, v101
	v_add_co_ci_u32_e32 v3, vcc_lo, v3, v112, vcc_lo
	s_mov_b32 s19, exec_lo
	s_waitcnt lgkmcnt(0)
	s_delay_alu instid0(VALU_DEP_1)
	v_cmpx_lt_u64_e64 v[17:18], v[2:3]
	s_cbranch_execz .LBB2_256
; %bb.246:                              ;   in Loop: Header=BB2_221 Depth=2
	s_mov_b32 s20, 0
	s_mov_b32 s23, 0
                                        ; implicit-def: $sgpr21
                                        ; implicit-def: $sgpr22
	s_branch .LBB2_248
.LBB2_247:                              ;   in Loop: Header=BB2_248 Depth=3
	s_or_b32 exec_lo, exec_lo, s26
	s_delay_alu instid0(SALU_CYCLE_1) | instskip(NEXT) | instid1(SALU_CYCLE_1)
	s_and_b32 s24, exec_lo, s25
	s_or_b32 s20, s24, s20
	s_and_not1_b32 s21, s21, exec_lo
	s_and_b32 s24, s22, exec_lo
	s_delay_alu instid0(SALU_CYCLE_1)
	s_or_b32 s21, s21, s24
	s_and_not1_b32 exec_lo, exec_lo, s20
	s_cbranch_execz .LBB2_254
.LBB2_248:                              ;   Parent Loop BB2_40 Depth=1
                                        ;     Parent Loop BB2_221 Depth=2
                                        ; =>    This Inner Loop Header: Depth=3
	s_add_i32 s23, s23, 1
                                        ; implicit-def: $sgpr25
	s_delay_alu instid0(SALU_CYCLE_1) | instskip(SKIP_1) | instid1(SALU_CYCLE_1)
	s_cmpk_lg_i32 s23, 0x2710
	s_cselect_b32 s24, -1, 0
	s_and_b32 vcc_lo, exec_lo, s24
	s_cbranch_vccz .LBB2_252
.LBB2_249:                              ;   in Loop: Header=BB2_248 Depth=3
	s_and_not1_b32 s22, s22, exec_lo
	s_and_b32 s26, s25, exec_lo
	s_mov_b32 s25, -1
	s_or_b32 s22, s22, s26
	s_and_saveexec_b32 s26, s24
	s_cbranch_execz .LBB2_247
; %bb.250:                              ;   in Loop: Header=BB2_248 Depth=3
	s_sleep 1
	s_cbranch_execnz .LBB2_1080
; %bb.251:                              ;   in Loop: Header=BB2_248 Depth=3
	ds_load_b64 v[17:18], v0
	s_and_not1_b32 s22, s22, exec_lo
	s_waitcnt lgkmcnt(0)
	v_cmp_ge_u64_e32 vcc_lo, v[17:18], v[2:3]
	s_or_not1_b32 s25, vcc_lo, exec_lo
	s_branch .LBB2_247
.LBB2_252:                              ;   in Loop: Header=BB2_248 Depth=3
	s_cbranch_execnz .LBB2_1084
; %bb.253:                              ;   in Loop: Header=BB2_248 Depth=3
	ds_load_b64 v[17:18], v0
	s_and_not1_b32 s24, s24, exec_lo
	s_mov_b32 s23, 0
	s_mov_b32 s25, -1
	s_waitcnt lgkmcnt(0)
	flat_load_b32 v17, v[17:18] glc
	s_waitcnt vmcnt(0) lgkmcnt(0)
	buffer_gl1_inv
	buffer_gl0_inv
	v_cmp_eq_u32_e32 vcc_lo, 0, v17
	s_and_b32 s26, vcc_lo, exec_lo
	s_delay_alu instid0(SALU_CYCLE_1)
	s_or_b32 s24, s24, s26
	s_branch .LBB2_249
.LBB2_254:                              ;   in Loop: Header=BB2_221 Depth=2
	s_or_b32 exec_lo, exec_lo, s20
	s_and_saveexec_b32 s20, s21
	s_delay_alu instid0(SALU_CYCLE_1)
	s_xor_b32 s20, exec_lo, s20
	s_cbranch_execz .LBB2_256
; %bb.255:                              ;   in Loop: Header=BB2_221 Depth=2
	ds_store_b32 v0, v130
	s_cbranch_execnz .LBB2_1105
.LBB2_256:                              ;   in Loop: Header=BB2_221 Depth=2
	s_or_b32 exec_lo, exec_lo, s19
	;;#ASMSTART
	s_wakeup
	;;#ASMEND
.LBB2_257:                              ;   in Loop: Header=BB2_221 Depth=2
	s_or_b32 exec_lo, exec_lo, s18
.LBB2_258:                              ;   in Loop: Header=BB2_221 Depth=2
	s_and_not1_saveexec_b32 s9, s9
	s_cbranch_execz .LBB2_260
; %bb.259:                              ;   in Loop: Header=BB2_221 Depth=2
	s_waitcnt vmcnt(0) lgkmcnt(0)
	s_waitcnt_vscnt null, 0x0
	buffer_gl1_inv
	buffer_gl0_inv
	s_barrier
.LBB2_260:                              ;   in Loop: Header=BB2_221 Depth=2
	s_or_b32 exec_lo, exec_lo, s9
.LBB2_261:                              ;   in Loop: Header=BB2_221 Depth=2
	s_delay_alu instid0(SALU_CYCLE_1)
	s_or_b32 exec_lo, exec_lo, s8
	v_mov_b32_e32 v82, v4
	s_and_saveexec_b32 s18, s7
	s_cbranch_execz .LBB2_603
; %bb.262:                              ;   in Loop: Header=BB2_221 Depth=2
	v_dual_mov_b32 v82, v70 :: v_dual_and_b32 v17, 7, v32
	v_and_b32_e32 v18, 7, v70
	s_waitcnt vmcnt(0) lgkmcnt(0)
	v_ashrrev_i32_e32 v21, 31, v19
	v_mad_u64_u32 v[84:85], null, v99, v19, v[80:81]
	v_mul_lo_u32 v17, v17, s14
	v_mul_lo_u32 v20, v18, s14
	;; [unrolled: 1-line block ×4, first 2 shown]
	v_add_nc_u32_e32 v54, 1, v32
	v_mov_b32_e32 v150, v132
	s_mov_b32 s19, 0
	v_ashrrev_i32_e32 v18, 31, v17
	v_ashrrev_i32_e32 v21, 31, v20
	v_add3_u32 v85, v19, v85, v22
	s_delay_alu instid0(VALU_DEP_3) | instskip(NEXT) | instid1(VALU_DEP_3)
	v_lshlrev_b64 v[17:18], 4, v[17:18]
	v_lshlrev_b64 v[19:20], 4, v[20:21]
	s_delay_alu instid0(VALU_DEP_2) | instskip(NEXT) | instid1(VALU_DEP_3)
	v_add_co_u32 v145, vcc_lo, v29, v17
	v_add_co_ci_u32_e32 v146, vcc_lo, v30, v18, vcc_lo
	s_delay_alu instid0(VALU_DEP_3) | instskip(NEXT) | instid1(VALU_DEP_4)
	v_add_co_u32 v147, vcc_lo, v38, v19
	v_add_co_ci_u32_e32 v148, vcc_lo, v39, v20, vcc_lo
	v_add_co_u32 v149, vcc_lo, 0, 0
	v_add_co_ci_u32_e32 v18, vcc_lo, 1, v82, vcc_lo
	v_mov_b32_e32 v82, v4
	s_branch .LBB2_266
.LBB2_263:                              ;   in Loop: Header=BB2_266 Depth=3
	s_or_b32 exec_lo, exec_lo, s8
	s_delay_alu instid0(VALU_DEP_1) | instskip(NEXT) | instid1(VALU_DEP_2)
	v_lshrrev_b32_e32 v96, 20, v96
	v_cmp_gt_i32_e32 vcc_lo, 16, v83
	v_min_i32_e32 v161, 15, v83
	v_lshrrev_b32_e32 v21, 24, v21
	s_delay_alu instid0(VALU_DEP_2) | instskip(NEXT) | instid1(VALU_DEP_2)
	v_dual_cndmask_b32 v96, 7, v96 :: v_dual_lshlrev_b32 v161, 3, v161
	v_and_b32_e32 v21, 0x80, v21
	s_delay_alu instid0(VALU_DEP_2) | instskip(NEXT) | instid1(VALU_DEP_3)
	v_or_b32_e32 v83, v83, v96
	v_and_b32_e32 v161, 0xf8, v161
	s_delay_alu instid0(VALU_DEP_2) | instskip(SKIP_1) | instid1(VALU_DEP_1)
	v_cmp_ne_u32_e32 vcc_lo, 0, v83
	v_and_b32_e32 v162, 7, v96
	v_or3_b32 v21, v21, v161, v162
	s_delay_alu instid0(VALU_DEP_1) | instskip(NEXT) | instid1(VALU_DEP_1)
	v_lshlrev_b32_e32 v21, 8, v21
	v_cndmask_b32_e32 v83, 0, v21, vcc_lo
.LBB2_264:                              ;   in Loop: Header=BB2_266 Depth=3
	s_or_b32 exec_lo, exec_lo, s20
.LBB2_265:                              ;   in Loop: Header=BB2_266 Depth=3
	s_delay_alu instid0(SALU_CYCLE_1) | instskip(SKIP_4) | instid1(VALU_DEP_4)
	s_or_b32 exec_lo, exec_lo, s9
	v_and_b32_e32 v21, 0xff, v97
	v_lshlrev_b32_e32 v96, 8, v151
	v_or_b32_e32 v20, v83, v20
	v_add_co_u32 v84, vcc_lo, v84, v103
	v_lshlrev_b32_e32 v21, 16, v21
	v_sub_nc_u32_e32 v150, v150, v103
	v_add_co_ci_u32_e32 v85, vcc_lo, v85, v114, vcc_lo
	v_and_or_b32 v83, 0xff, v22, v160
	v_perm_b32 v17, v96, v17, 0xc0c0500
	v_lshl_or_b32 v19, v19, 24, v21
	v_lshlrev_b32_e32 v20, 16, v20
	v_add_co_u32 v21, vcc_lo, v147, v86
	v_add_co_ci_u32_e32 v22, vcc_lo, v148, v87, vcc_lo
	v_cmp_gt_i32_e32 vcc_lo, 1, v150
	v_or3_b32 v17, v19, v17, v149
	v_or3_b32 v19, v83, v20, v149
	v_mov_b32_e32 v20, v18
	v_add_nc_u32_e32 v82, v82, v1
	s_or_b32 s19, vcc_lo, s19
	global_store_b128 v[21:22], v[17:20], off
	s_and_not1_b32 exec_lo, exec_lo, s19
	s_cbranch_execz .LBB2_602
.LBB2_266:                              ;   Parent Loop BB2_40 Depth=1
                                        ;     Parent Loop BB2_221 Depth=2
                                        ; =>    This Loop Header: Depth=3
                                        ;         Child Loop BB2_274 Depth 4
	v_dual_mov_b32 v20, v85 :: v_dual_and_b32 v19, -4, v84
	v_min_u32_e32 v21, 8, v150
	v_dual_mov_b32 v161, 0 :: v_dual_and_b32 v22, 3, v84
	v_mov_b32_e32 v160, 0
	flat_load_b32 v17, v[19:20] glc
	v_add_co_u32 v21, s8, v22, v21
	s_delay_alu instid0(VALU_DEP_1) | instskip(SKIP_1) | instid1(VALU_DEP_1)
	v_add_co_ci_u32_e64 v22, null, 0, 0, s8
	s_mov_b32 s8, exec_lo
	v_cmpx_lt_u64_e32 4, v[21:22]
	s_cbranch_execz .LBB2_268
; %bb.267:                              ;   in Loop: Header=BB2_266 Depth=3
	flat_load_b32 v161, v[19:20] offset:4 glc
.LBB2_268:                              ;   in Loop: Header=BB2_266 Depth=3
	s_or_b32 exec_lo, exec_lo, s8
	s_delay_alu instid0(SALU_CYCLE_1)
	s_mov_b32 s8, exec_lo
	v_cmpx_lt_u64_e32 8, v[21:22]
	s_cbranch_execz .LBB2_270
; %bb.269:                              ;   in Loop: Header=BB2_266 Depth=3
	flat_load_b32 v160, v[19:20] offset:8 glc
.LBB2_270:                              ;   in Loop: Header=BB2_266 Depth=3
	s_or_b32 exec_lo, exec_lo, s8
	v_ashrrev_i32_e32 v83, 31, v82
	s_delay_alu instid0(VALU_DEP_1) | instskip(NEXT) | instid1(VALU_DEP_1)
	v_lshlrev_b64 v[86:87], 4, v[82:83]
	v_add_co_u32 v96, vcc_lo, v145, v86
	s_delay_alu instid0(VALU_DEP_2)
	v_add_co_ci_u32_e32 v97, vcc_lo, v146, v87, vcc_lo
	v_cmp_eq_u32_e32 vcc_lo, 0, v131
	;;#ASMSTART
	global_load_b128 v[19:22], v[96:97], off glc slc dlc
s_waitcnt vmcnt(0)

	;;#ASMEND
	s_and_saveexec_b32 s20, vcc_lo
	s_cbranch_execz .LBB2_284
; %bb.271:                              ;   in Loop: Header=BB2_266 Depth=3
	v_cmp_ne_u32_e64 s8, v54, v20
	v_cmp_ne_u32_e64 s9, v54, v22
	v_mov_b32_e32 v131, 0
	s_delay_alu instid0(VALU_DEP_2) | instskip(NEXT) | instid1(SALU_CYCLE_1)
	s_or_b32 s8, s8, s9
	s_and_saveexec_b32 s9, s8
	s_cbranch_execz .LBB2_283
; %bb.272:                              ;   in Loop: Header=BB2_266 Depth=3
	v_cndmask_b32_e64 v83, 0, 1, vcc_lo
	s_mov_b32 s21, 0
                                        ; implicit-def: $sgpr22
                                        ; implicit-def: $sgpr23
	s_branch .LBB2_274
.LBB2_273:                              ;   in Loop: Header=BB2_274 Depth=4
	s_or_b32 exec_lo, exec_lo, s24
	s_delay_alu instid0(SALU_CYCLE_1) | instskip(NEXT) | instid1(SALU_CYCLE_1)
	s_and_b32 s8, exec_lo, s8
	s_or_b32 s21, s8, s21
	s_and_not1_b32 s8, s22, exec_lo
	s_and_b32 s22, s23, exec_lo
	s_delay_alu instid0(SALU_CYCLE_1)
	s_or_b32 s22, s8, s22
	s_and_not1_b32 exec_lo, exec_lo, s21
	s_cbranch_execz .LBB2_282
.LBB2_274:                              ;   Parent Loop BB2_40 Depth=1
                                        ;     Parent Loop BB2_221 Depth=2
                                        ;       Parent Loop BB2_266 Depth=3
                                        ; =>      This Inner Loop Header: Depth=4
	s_delay_alu instid0(VALU_DEP_1)
	v_add_nc_u32_e32 v83, 1, v83
	v_mov_b32_e32 v131, 0
	s_mov_b32 s8, -1
	s_mov_b32 s25, -1
	s_mov_b32 s24, exec_lo
	;;#ASMSTART
	global_load_b128 v[19:22], v[96:97], off glc slc dlc
s_waitcnt vmcnt(0)

	;;#ASMEND
	v_cmpx_eq_u32_e32 0x2710, v83
	s_cbranch_execz .LBB2_280
; %bb.275:                              ;   in Loop: Header=BB2_274 Depth=4
	s_cbranch_execnz .LBB2_1031
; %bb.276:                              ;   in Loop: Header=BB2_274 Depth=4
	ds_load_b64 v[162:163], v0
	v_mov_b32_e32 v83, 0
	v_mov_b32_e32 v131, 0
	s_mov_b32 s26, -1
	s_mov_b32 s25, exec_lo
	s_waitcnt vmcnt(0) lgkmcnt(0)
	s_waitcnt_vscnt null, 0x0
	flat_load_b32 v151, v[162:163] glc
	s_waitcnt vmcnt(0) lgkmcnt(0)
	buffer_gl1_inv
	buffer_gl0_inv
	v_cmpx_ne_u32_e32 0, v151
	s_cbranch_execz .LBB2_279
; %bb.277:                              ;   in Loop: Header=BB2_274 Depth=4
	ds_store_b32 v0, v151
	s_cbranch_execnz .LBB2_1039
; %bb.278:                              ;   in Loop: Header=BB2_274 Depth=4
	v_mov_b32_e32 v131, 1
	s_xor_b32 s26, exec_lo, -1
.LBB2_279:                              ;   in Loop: Header=BB2_274 Depth=4
	s_or_b32 exec_lo, exec_lo, s25
	s_delay_alu instid0(SALU_CYCLE_1)
	s_or_not1_b32 s25, s26, exec_lo
.LBB2_280:                              ;   in Loop: Header=BB2_274 Depth=4
	s_or_b32 exec_lo, exec_lo, s24
	s_delay_alu instid0(SALU_CYCLE_1)
	s_or_b32 s23, s23, exec_lo
	s_and_saveexec_b32 s24, s25
	s_cbranch_execz .LBB2_273
; %bb.281:                              ;   in Loop: Header=BB2_274 Depth=4
	v_cmp_eq_u32_e32 vcc_lo, v54, v20
	v_cmp_eq_u32_e64 s8, v54, v22
	s_and_not1_b32 s23, s23, exec_lo
	s_delay_alu instid0(VALU_DEP_1) | instskip(NEXT) | instid1(SALU_CYCLE_1)
	s_and_b32 s8, vcc_lo, s8
	s_or_not1_b32 s8, s8, exec_lo
	s_branch .LBB2_273
.LBB2_282:                              ;   in Loop: Header=BB2_266 Depth=3
	s_or_b32 exec_lo, exec_lo, s21
	s_xor_b32 s8, s22, -1
	s_delay_alu instid0(SALU_CYCLE_1) | instskip(NEXT) | instid1(SALU_CYCLE_1)
	s_and_saveexec_b32 s21, s8
	s_xor_b32 s8, exec_lo, s21
	s_delay_alu instid0(SALU_CYCLE_1) | instskip(NEXT) | instid1(SALU_CYCLE_1)
	s_and_not1_saveexec_b32 s8, s8
	s_or_b32 exec_lo, exec_lo, s8
.LBB2_283:                              ;   in Loop: Header=BB2_266 Depth=3
	s_delay_alu instid0(SALU_CYCLE_1)
	s_or_b32 exec_lo, exec_lo, s9
.LBB2_284:                              ;   in Loop: Header=BB2_266 Depth=3
	s_delay_alu instid0(SALU_CYCLE_1) | instskip(SKIP_4) | instid1(VALU_DEP_1)
	s_or_b32 exec_lo, exec_lo, s20
	v_lshlrev_b32_e32 v20, 3, v84
	s_mov_b32 s8, 0
	s_mov_b32 s20, exec_lo
                                        ; implicit-def: $sgpr9
	s_waitcnt vmcnt(0) lgkmcnt(0)
	v_alignbit_b32 v22, v161, v17, v20
	s_delay_alu instid0(VALU_DEP_1) | instskip(NEXT) | instid1(VALU_DEP_1)
	v_and_b32_e32 v83, 0xff, v22
	v_cmpx_lt_i16_e32 0x7f, v83
	s_xor_b32 s20, exec_lo, s20
	s_cbranch_execnz .LBB2_506
; %bb.285:                              ;   in Loop: Header=BB2_266 Depth=3
	s_or_saveexec_b32 s20, s20
	v_mov_b32_e32 v17, s9
	s_xor_b32 exec_lo, exec_lo, s20
	s_cbranch_execnz .LBB2_509
.LBB2_286:                              ;   in Loop: Header=BB2_266 Depth=3
	s_or_b32 exec_lo, exec_lo, s20
	s_and_saveexec_b32 s9, s8
	s_cbranch_execz .LBB2_288
.LBB2_287:                              ;   in Loop: Header=BB2_266 Depth=3
	v_and_b32_e32 v17, 7, v22
	v_bfe_u32 v97, v22, 3, 4
	v_lshlrev_b32_e32 v151, 24, v22
	s_delay_alu instid0(VALU_DEP_3) | instskip(NEXT) | instid1(VALU_DEP_3)
	v_clz_i32_u32_e32 v83, v17
	v_cmp_eq_u32_e32 vcc_lo, 0, v97
	s_delay_alu instid0(VALU_DEP_2) | instskip(NEXT) | instid1(VALU_DEP_1)
	v_min_u32_e32 v83, 32, v83
	v_subrev_nc_u32_e32 v96, 28, v83
	v_sub_nc_u32_e32 v83, 29, v83
	s_delay_alu instid0(VALU_DEP_1) | instskip(NEXT) | instid1(VALU_DEP_1)
	v_dual_cndmask_b32 v83, v97, v83 :: v_dual_lshlrev_b32 v96, v96, v22
	v_and_b32_e32 v96, 7, v96
	s_delay_alu instid0(VALU_DEP_2) | instskip(NEXT) | instid1(VALU_DEP_2)
	v_lshl_add_u32 v83, v83, 23, 0x3b800000
	v_dual_cndmask_b32 v17, v17, v96 :: v_dual_and_b32 v96, 0x80000000, v151
	s_delay_alu instid0(VALU_DEP_1) | instskip(NEXT) | instid1(VALU_DEP_1)
	v_lshlrev_b32_e32 v17, 20, v17
	v_or3_b32 v17, v96, v83, v17
.LBB2_288:                              ;   in Loop: Header=BB2_266 Depth=3
	s_or_b32 exec_lo, exec_lo, s9
	s_delay_alu instid0(VALU_DEP_1) | instskip(NEXT) | instid1(VALU_DEP_1)
	v_mul_f32_e32 v83, v0, v17
	v_and_b32_e32 v17, 0x7f800000, v83
	s_delay_alu instid0(VALU_DEP_1)
	v_cmp_ne_u32_e32 vcc_lo, 0x7f800000, v17
	v_mov_b32_e32 v17, 0x80
	s_and_saveexec_b32 s9, vcc_lo
	s_cbranch_execz .LBB2_296
; %bb.289:                              ;   in Loop: Header=BB2_266 Depth=3
	v_mov_b32_e32 v17, 0
	s_mov_b32 s20, exec_lo
	v_cmpx_ne_u32_e32 0, v83
	s_cbranch_execz .LBB2_295
; %bb.290:                              ;   in Loop: Header=BB2_266 Depth=3
	v_bfe_u32 v17, v83, 23, 8
	s_delay_alu instid0(VALU_DEP_1) | instskip(SKIP_1) | instid1(VALU_DEP_2)
	v_sub_nc_u32_e32 v97, 0x78, v17
	v_cmp_gt_u32_e32 vcc_lo, 0x79, v17
	v_dual_cndmask_b32 v97, 0, v97 :: v_dual_and_b32 v96, 0x7fffff, v83
	s_delay_alu instid0(VALU_DEP_1) | instskip(SKIP_2) | instid1(VALU_DEP_4)
	v_or_b32_e32 v151, 0x800000, v96
	v_cmp_eq_u32_e32 vcc_lo, 0, v17
	v_add_nc_u32_e32 v17, 0xffffff89, v17
	v_cndmask_b32_e64 v97, v97, 0x77, vcc_lo
	s_delay_alu instid0(VALU_DEP_4) | instskip(NEXT) | instid1(VALU_DEP_3)
	v_cndmask_b32_e32 v96, v151, v96, vcc_lo
	v_cndmask_b32_e64 v17, v17, 0xffffff8a, vcc_lo
	s_delay_alu instid0(VALU_DEP_3) | instskip(NEXT) | instid1(VALU_DEP_3)
	v_lshl_add_u32 v151, 0x100000, v97, -1
	v_lshrrev_b32_e32 v162, v97, v96
	v_lshlrev_b32_e64 v164, v97, 0x80000
	s_delay_alu instid0(VALU_DEP_4) | instskip(NEXT) | instid1(VALU_DEP_4)
	v_add_nc_u32_e32 v97, v97, v17
	v_and_b32_e32 v96, v151, v96
	s_delay_alu instid0(VALU_DEP_4) | instskip(NEXT) | instid1(VALU_DEP_2)
	v_bfe_u32 v163, v162, 20, 1
	v_cmp_eq_u32_e64 s8, v96, v164
	s_delay_alu instid0(VALU_DEP_2) | instskip(NEXT) | instid1(VALU_DEP_1)
	v_add_nc_u32_e32 v151, -1, v163
	v_cndmask_b32_e64 v96, 0, v151, s8
	v_lshrrev_b32_e32 v151, 23, v162
	s_mov_b32 s8, exec_lo
	s_delay_alu instid0(VALU_DEP_2) | instskip(NEXT) | instid1(VALU_DEP_2)
	v_add_nc_u32_e32 v96, v96, v162
	v_xor_b32_e32 v151, 1, v151
	s_delay_alu instid0(VALU_DEP_2) | instskip(NEXT) | instid1(VALU_DEP_1)
	v_and_b32_e32 v17, 0xfffff, v96
	v_add_nc_u32_e32 v96, v17, v162
                                        ; implicit-def: $vgpr17
	s_delay_alu instid0(VALU_DEP_3)
	v_cmpx_ne_u32_e64 v97, v151
	s_xor_b32 s8, exec_lo, s8
; %bb.291:                              ;   in Loop: Header=BB2_266 Depth=3
	s_delay_alu instid0(VALU_DEP_2) | instskip(SKIP_2) | instid1(VALU_DEP_2)
	v_cmp_lt_u32_e32 vcc_lo, 0xffffff, v96
	v_sub_nc_u32_e32 v17, v97, v151
	v_cndmask_b32_e64 v97, 0, 1, vcc_lo
	v_add_co_ci_u32_e32 v17, vcc_lo, 0, v17, vcc_lo
	s_delay_alu instid0(VALU_DEP_2)
	v_lshrrev_b32_e32 v96, v97, v96
; %bb.292:                              ;   in Loop: Header=BB2_266 Depth=3
	s_and_not1_saveexec_b32 s8, s8
; %bb.293:                              ;   in Loop: Header=BB2_266 Depth=3
	s_delay_alu instid0(VALU_DEP_1)
	v_bfe_u32 v17, v96, 23, 1
; %bb.294:                              ;   in Loop: Header=BB2_266 Depth=3
	s_or_b32 exec_lo, exec_lo, s8
	v_lshrrev_b32_e32 v96, 20, v96
	s_delay_alu instid0(VALU_DEP_2) | instskip(SKIP_2) | instid1(VALU_DEP_2)
	v_cmp_gt_i32_e32 vcc_lo, 16, v17
	v_lshrrev_b32_e32 v83, 24, v83
	v_min_i32_e32 v97, 15, v17
	v_dual_cndmask_b32 v96, 7, v96 :: v_dual_and_b32 v83, 0x80, v83
	s_delay_alu instid0(VALU_DEP_2) | instskip(NEXT) | instid1(VALU_DEP_2)
	v_lshlrev_b32_e32 v97, 3, v97
	v_and_b32_e32 v151, 7, v96
	v_or_b32_e32 v17, v17, v96
	s_delay_alu instid0(VALU_DEP_2) | instskip(NEXT) | instid1(VALU_DEP_2)
	v_or3_b32 v83, v97, v83, v151
	v_cmp_ne_u32_e32 vcc_lo, 0, v17
	s_delay_alu instid0(VALU_DEP_2)
	v_cndmask_b32_e32 v17, 0, v83, vcc_lo
.LBB2_295:                              ;   in Loop: Header=BB2_266 Depth=3
	s_or_b32 exec_lo, exec_lo, s20
.LBB2_296:                              ;   in Loop: Header=BB2_266 Depth=3
	s_delay_alu instid0(SALU_CYCLE_1) | instskip(SKIP_3) | instid1(VALU_DEP_1)
	s_or_b32 exec_lo, exec_lo, s9
	v_lshrrev_b16 v83, 8, v22
	s_mov_b32 s8, 0
	s_mov_b32 s20, exec_lo
                                        ; implicit-def: $sgpr9
	v_cmpx_lt_i16_e32 0x7f, v83
	s_xor_b32 s20, exec_lo, s20
	s_cbranch_execnz .LBB2_510
; %bb.297:                              ;   in Loop: Header=BB2_266 Depth=3
	s_or_saveexec_b32 s20, s20
	v_mov_b32_e32 v96, s9
	s_xor_b32 exec_lo, exec_lo, s20
	s_cbranch_execnz .LBB2_513
.LBB2_298:                              ;   in Loop: Header=BB2_266 Depth=3
	s_or_b32 exec_lo, exec_lo, s20
	s_and_saveexec_b32 s9, s8
	s_cbranch_execz .LBB2_300
.LBB2_299:                              ;   in Loop: Header=BB2_266 Depth=3
	v_and_b32_e32 v96, 0xffff, v83
	v_lshlrev_b32_e32 v83, 24, v83
	s_delay_alu instid0(VALU_DEP_2) | instskip(NEXT) | instid1(VALU_DEP_2)
	v_and_b32_e32 v97, 7, v96
	v_and_b32_e32 v83, 0x80000000, v83
	s_delay_alu instid0(VALU_DEP_2) | instskip(NEXT) | instid1(VALU_DEP_1)
	v_clz_i32_u32_e32 v151, v97
	v_min_u32_e32 v151, 32, v151
	s_delay_alu instid0(VALU_DEP_1) | instskip(SKIP_1) | instid1(VALU_DEP_2)
	v_subrev_nc_u32_e32 v162, 28, v151
	v_sub_nc_u32_e32 v151, 29, v151
	v_lshlrev_b32_e32 v162, v162, v96
	v_bfe_u32 v96, v96, 3, 4
	s_delay_alu instid0(VALU_DEP_2) | instskip(NEXT) | instid1(VALU_DEP_2)
	v_and_b32_e32 v162, 7, v162
	v_cmp_eq_u32_e32 vcc_lo, 0, v96
	s_delay_alu instid0(VALU_DEP_2) | instskip(NEXT) | instid1(VALU_DEP_1)
	v_dual_cndmask_b32 v96, v96, v151 :: v_dual_cndmask_b32 v97, v97, v162
	v_lshl_add_u32 v96, v96, 23, 0x3b800000
	s_delay_alu instid0(VALU_DEP_2) | instskip(NEXT) | instid1(VALU_DEP_1)
	v_lshlrev_b32_e32 v97, 20, v97
	v_or3_b32 v96, v83, v96, v97
.LBB2_300:                              ;   in Loop: Header=BB2_266 Depth=3
	s_or_b32 exec_lo, exec_lo, s9
	s_delay_alu instid0(VALU_DEP_1) | instskip(SKIP_2) | instid1(VALU_DEP_2)
	v_mul_f32_e32 v83, v0, v96
	v_mov_b32_e32 v151, 0x80
	s_mov_b32 s9, exec_lo
	v_and_b32_e32 v96, 0x7f800000, v83
	s_delay_alu instid0(VALU_DEP_1)
	v_cmpx_ne_u32_e32 0x7f800000, v96
	s_cbranch_execz .LBB2_308
; %bb.301:                              ;   in Loop: Header=BB2_266 Depth=3
	v_mov_b32_e32 v151, 0
	s_mov_b32 s20, exec_lo
	v_cmpx_ne_u32_e32 0, v83
	s_cbranch_execz .LBB2_307
; %bb.302:                              ;   in Loop: Header=BB2_266 Depth=3
	v_bfe_u32 v96, v83, 23, 8
	v_and_b32_e32 v97, 0x7fffff, v83
	s_delay_alu instid0(VALU_DEP_2) | instskip(SKIP_1) | instid1(VALU_DEP_3)
	v_sub_nc_u32_e32 v151, 0x78, v96
	v_cmp_gt_u32_e32 vcc_lo, 0x79, v96
	v_or_b32_e32 v162, 0x800000, v97
	s_delay_alu instid0(VALU_DEP_3) | instskip(SKIP_2) | instid1(VALU_DEP_3)
	v_cndmask_b32_e32 v151, 0, v151, vcc_lo
	v_cmp_eq_u32_e32 vcc_lo, 0, v96
	v_add_nc_u32_e32 v96, 0xffffff89, v96
	v_cndmask_b32_e64 v151, v151, 0x77, vcc_lo
	v_cndmask_b32_e32 v97, v162, v97, vcc_lo
	s_delay_alu instid0(VALU_DEP_3) | instskip(NEXT) | instid1(VALU_DEP_3)
	v_cndmask_b32_e64 v96, v96, 0xffffff8a, vcc_lo
	v_lshl_add_u32 v162, 0x100000, v151, -1
	s_delay_alu instid0(VALU_DEP_3) | instskip(SKIP_1) | instid1(VALU_DEP_4)
	v_lshrrev_b32_e32 v163, v151, v97
	v_lshlrev_b32_e64 v165, v151, 0x80000
	v_add_nc_u32_e32 v151, v151, v96
	s_delay_alu instid0(VALU_DEP_4) | instskip(NEXT) | instid1(VALU_DEP_4)
	v_and_b32_e32 v97, v162, v97
	v_bfe_u32 v164, v163, 20, 1
	s_delay_alu instid0(VALU_DEP_2) | instskip(NEXT) | instid1(VALU_DEP_2)
	v_cmp_eq_u32_e64 s8, v97, v165
	v_add_nc_u32_e32 v162, -1, v164
	s_delay_alu instid0(VALU_DEP_1) | instskip(SKIP_2) | instid1(VALU_DEP_2)
	v_cndmask_b32_e64 v97, 0, v162, s8
	v_lshrrev_b32_e32 v162, 23, v163
	s_mov_b32 s8, exec_lo
	v_add_nc_u32_e32 v97, v97, v163
	s_delay_alu instid0(VALU_DEP_2) | instskip(NEXT) | instid1(VALU_DEP_2)
	v_xor_b32_e32 v162, 1, v162
	v_and_b32_e32 v96, 0xfffff, v97
	s_delay_alu instid0(VALU_DEP_1) | instskip(NEXT) | instid1(VALU_DEP_3)
	v_add_nc_u32_e32 v97, v96, v163
                                        ; implicit-def: $vgpr96
	v_cmpx_ne_u32_e64 v151, v162
	s_xor_b32 s8, exec_lo, s8
; %bb.303:                              ;   in Loop: Header=BB2_266 Depth=3
	s_delay_alu instid0(VALU_DEP_2) | instskip(SKIP_2) | instid1(VALU_DEP_2)
	v_cmp_lt_u32_e32 vcc_lo, 0xffffff, v97
	v_sub_nc_u32_e32 v96, v151, v162
	v_cndmask_b32_e64 v151, 0, 1, vcc_lo
	v_add_co_ci_u32_e32 v96, vcc_lo, 0, v96, vcc_lo
	s_delay_alu instid0(VALU_DEP_2)
	v_lshrrev_b32_e32 v97, v151, v97
; %bb.304:                              ;   in Loop: Header=BB2_266 Depth=3
	s_and_not1_saveexec_b32 s8, s8
; %bb.305:                              ;   in Loop: Header=BB2_266 Depth=3
	s_delay_alu instid0(VALU_DEP_1)
	v_bfe_u32 v96, v97, 23, 1
; %bb.306:                              ;   in Loop: Header=BB2_266 Depth=3
	s_or_b32 exec_lo, exec_lo, s8
	v_lshrrev_b32_e32 v97, 20, v97
	s_delay_alu instid0(VALU_DEP_2) | instskip(SKIP_2) | instid1(VALU_DEP_4)
	v_cmp_gt_i32_e32 vcc_lo, 16, v96
	v_lshrrev_b32_e32 v83, 24, v83
	v_min_i32_e32 v151, 15, v96
	v_cndmask_b32_e32 v97, 7, v97, vcc_lo
	s_delay_alu instid0(VALU_DEP_3) | instskip(NEXT) | instid1(VALU_DEP_3)
	v_and_b32_e32 v83, 0x80, v83
	v_lshlrev_b32_e32 v151, 3, v151
	s_delay_alu instid0(VALU_DEP_3) | instskip(NEXT) | instid1(VALU_DEP_1)
	v_or_b32_e32 v96, v96, v97
	v_cmp_ne_u32_e32 vcc_lo, 0, v96
	v_and_b32_e32 v162, 7, v97
	s_delay_alu instid0(VALU_DEP_1) | instskip(NEXT) | instid1(VALU_DEP_1)
	v_or3_b32 v83, v151, v83, v162
	v_cndmask_b32_e32 v151, 0, v83, vcc_lo
.LBB2_307:                              ;   in Loop: Header=BB2_266 Depth=3
	s_or_b32 exec_lo, exec_lo, s20
.LBB2_308:                              ;   in Loop: Header=BB2_266 Depth=3
	s_delay_alu instid0(SALU_CYCLE_1) | instskip(SKIP_3) | instid1(VALU_DEP_1)
	s_or_b32 exec_lo, exec_lo, s9
	v_lshrrev_b32_e32 v83, 16, v22
	s_mov_b32 s8, 0
	s_mov_b32 s20, exec_lo
                                        ; implicit-def: $sgpr9
	v_and_b32_e32 v97, 0xff, v83
	s_delay_alu instid0(VALU_DEP_1)
	v_cmpx_lt_i16_e32 0x7f, v97
	s_xor_b32 s20, exec_lo, s20
	s_cbranch_execnz .LBB2_514
; %bb.309:                              ;   in Loop: Header=BB2_266 Depth=3
	s_or_saveexec_b32 s20, s20
	v_mov_b32_e32 v96, s9
	s_xor_b32 exec_lo, exec_lo, s20
	s_cbranch_execnz .LBB2_517
.LBB2_310:                              ;   in Loop: Header=BB2_266 Depth=3
	s_or_b32 exec_lo, exec_lo, s20
	s_and_saveexec_b32 s9, s8
	s_cbranch_execz .LBB2_312
.LBB2_311:                              ;   in Loop: Header=BB2_266 Depth=3
	v_bfe_u32 v96, v22, 16, 3
	v_lshlrev_b32_e32 v163, 8, v22
	s_delay_alu instid0(VALU_DEP_2) | instskip(NEXT) | instid1(VALU_DEP_1)
	v_clz_i32_u32_e32 v97, v96
	v_min_u32_e32 v97, 32, v97
	s_delay_alu instid0(VALU_DEP_1) | instskip(SKIP_1) | instid1(VALU_DEP_2)
	v_subrev_nc_u32_e32 v162, 28, v97
	v_sub_nc_u32_e32 v97, 29, v97
	v_lshlrev_b32_e32 v83, v162, v83
	v_bfe_u32 v162, v22, 19, 4
	s_delay_alu instid0(VALU_DEP_2) | instskip(NEXT) | instid1(VALU_DEP_2)
	v_and_b32_e32 v83, 7, v83
	v_cmp_eq_u32_e32 vcc_lo, 0, v162
	v_cndmask_b32_e32 v97, v162, v97, vcc_lo
	s_delay_alu instid0(VALU_DEP_3) | instskip(SKIP_1) | instid1(VALU_DEP_3)
	v_cndmask_b32_e32 v83, v96, v83, vcc_lo
	v_and_b32_e32 v96, 0x80000000, v163
	v_lshl_add_u32 v97, v97, 23, 0x3b800000
	s_delay_alu instid0(VALU_DEP_3) | instskip(NEXT) | instid1(VALU_DEP_1)
	v_lshlrev_b32_e32 v83, 20, v83
	v_or3_b32 v96, v96, v97, v83
.LBB2_312:                              ;   in Loop: Header=BB2_266 Depth=3
	s_or_b32 exec_lo, exec_lo, s9
	s_delay_alu instid0(VALU_DEP_1) | instskip(SKIP_2) | instid1(VALU_DEP_2)
	v_mul_f32_e32 v83, v0, v96
	v_mov_b32_e32 v97, 0x80
	s_mov_b32 s9, exec_lo
	v_and_b32_e32 v96, 0x7f800000, v83
	s_delay_alu instid0(VALU_DEP_1)
	v_cmpx_ne_u32_e32 0x7f800000, v96
	s_cbranch_execz .LBB2_320
; %bb.313:                              ;   in Loop: Header=BB2_266 Depth=3
	v_mov_b32_e32 v97, 0
	s_mov_b32 s20, exec_lo
	v_cmpx_ne_u32_e32 0, v83
	s_cbranch_execz .LBB2_319
; %bb.314:                              ;   in Loop: Header=BB2_266 Depth=3
	v_bfe_u32 v96, v83, 23, 8
	s_delay_alu instid0(VALU_DEP_1) | instskip(SKIP_1) | instid1(VALU_DEP_2)
	v_sub_nc_u32_e32 v162, 0x78, v96
	v_cmp_gt_u32_e32 vcc_lo, 0x79, v96
	v_dual_cndmask_b32 v162, 0, v162 :: v_dual_and_b32 v97, 0x7fffff, v83
	s_delay_alu instid0(VALU_DEP_1) | instskip(SKIP_2) | instid1(VALU_DEP_4)
	v_or_b32_e32 v163, 0x800000, v97
	v_cmp_eq_u32_e32 vcc_lo, 0, v96
	v_add_nc_u32_e32 v96, 0xffffff89, v96
	v_cndmask_b32_e64 v162, v162, 0x77, vcc_lo
	s_delay_alu instid0(VALU_DEP_4) | instskip(NEXT) | instid1(VALU_DEP_3)
	v_cndmask_b32_e32 v97, v163, v97, vcc_lo
	v_cndmask_b32_e64 v96, v96, 0xffffff8a, vcc_lo
	s_delay_alu instid0(VALU_DEP_3) | instskip(NEXT) | instid1(VALU_DEP_3)
	v_lshl_add_u32 v163, 0x100000, v162, -1
	v_lshrrev_b32_e32 v164, v162, v97
	v_lshlrev_b32_e64 v166, v162, 0x80000
	s_delay_alu instid0(VALU_DEP_4) | instskip(NEXT) | instid1(VALU_DEP_4)
	v_add_nc_u32_e32 v162, v162, v96
	v_and_b32_e32 v97, v163, v97
	s_delay_alu instid0(VALU_DEP_4) | instskip(NEXT) | instid1(VALU_DEP_2)
	v_bfe_u32 v165, v164, 20, 1
	v_cmp_eq_u32_e64 s8, v97, v166
	s_delay_alu instid0(VALU_DEP_2) | instskip(NEXT) | instid1(VALU_DEP_1)
	v_add_nc_u32_e32 v163, -1, v165
	v_cndmask_b32_e64 v97, 0, v163, s8
	v_lshrrev_b32_e32 v163, 23, v164
	s_mov_b32 s8, exec_lo
	s_delay_alu instid0(VALU_DEP_2) | instskip(NEXT) | instid1(VALU_DEP_2)
	v_add_nc_u32_e32 v97, v97, v164
	v_xor_b32_e32 v163, 1, v163
	s_delay_alu instid0(VALU_DEP_2) | instskip(NEXT) | instid1(VALU_DEP_1)
	v_and_b32_e32 v96, 0xfffff, v97
	v_add_nc_u32_e32 v97, v96, v164
                                        ; implicit-def: $vgpr96
	s_delay_alu instid0(VALU_DEP_3)
	v_cmpx_ne_u32_e64 v162, v163
	s_xor_b32 s8, exec_lo, s8
; %bb.315:                              ;   in Loop: Header=BB2_266 Depth=3
	s_delay_alu instid0(VALU_DEP_2) | instskip(SKIP_2) | instid1(VALU_DEP_2)
	v_cmp_lt_u32_e32 vcc_lo, 0xffffff, v97
	v_sub_nc_u32_e32 v96, v162, v163
	v_cndmask_b32_e64 v162, 0, 1, vcc_lo
	v_add_co_ci_u32_e32 v96, vcc_lo, 0, v96, vcc_lo
	s_delay_alu instid0(VALU_DEP_2)
	v_lshrrev_b32_e32 v97, v162, v97
; %bb.316:                              ;   in Loop: Header=BB2_266 Depth=3
	s_and_not1_saveexec_b32 s8, s8
; %bb.317:                              ;   in Loop: Header=BB2_266 Depth=3
	s_delay_alu instid0(VALU_DEP_1)
	v_bfe_u32 v96, v97, 23, 1
; %bb.318:                              ;   in Loop: Header=BB2_266 Depth=3
	s_or_b32 exec_lo, exec_lo, s8
	v_lshrrev_b32_e32 v97, 20, v97
	s_delay_alu instid0(VALU_DEP_2) | instskip(SKIP_2) | instid1(VALU_DEP_4)
	v_cmp_gt_i32_e32 vcc_lo, 16, v96
	v_lshrrev_b32_e32 v83, 24, v83
	v_min_i32_e32 v162, 15, v96
	v_cndmask_b32_e32 v97, 7, v97, vcc_lo
	s_delay_alu instid0(VALU_DEP_3) | instskip(NEXT) | instid1(VALU_DEP_3)
	v_and_b32_e32 v83, 0x80, v83
	v_lshlrev_b32_e32 v162, 3, v162
	s_delay_alu instid0(VALU_DEP_3) | instskip(SKIP_1) | instid1(VALU_DEP_2)
	v_and_b32_e32 v163, 7, v97
	v_or_b32_e32 v96, v96, v97
	v_or3_b32 v83, v162, v83, v163
	s_delay_alu instid0(VALU_DEP_2) | instskip(NEXT) | instid1(VALU_DEP_2)
	v_cmp_ne_u32_e32 vcc_lo, 0, v96
	v_cndmask_b32_e32 v97, 0, v83, vcc_lo
.LBB2_319:                              ;   in Loop: Header=BB2_266 Depth=3
	s_or_b32 exec_lo, exec_lo, s20
.LBB2_320:                              ;   in Loop: Header=BB2_266 Depth=3
	s_delay_alu instid0(SALU_CYCLE_1) | instskip(SKIP_3) | instid1(VALU_DEP_1)
	s_or_b32 exec_lo, exec_lo, s9
	v_lshrrev_b32_e32 v83, 24, v22
	s_mov_b32 s8, 0
	s_mov_b32 s20, exec_lo
                                        ; implicit-def: $sgpr9
	v_cmpx_lt_i16_e32 0x7f, v83
	s_xor_b32 s20, exec_lo, s20
	s_cbranch_execnz .LBB2_518
; %bb.321:                              ;   in Loop: Header=BB2_266 Depth=3
	s_or_saveexec_b32 s20, s20
	v_mov_b32_e32 v96, s9
	s_xor_b32 exec_lo, exec_lo, s20
	s_cbranch_execnz .LBB2_521
.LBB2_322:                              ;   in Loop: Header=BB2_266 Depth=3
	s_or_b32 exec_lo, exec_lo, s20
	s_and_saveexec_b32 s9, s8
	s_cbranch_execz .LBB2_324
.LBB2_323:                              ;   in Loop: Header=BB2_266 Depth=3
	v_bfe_u32 v96, v22, 24, 3
	s_delay_alu instid0(VALU_DEP_1) | instskip(NEXT) | instid1(VALU_DEP_1)
	v_clz_i32_u32_e32 v162, v96
	v_min_u32_e32 v162, 32, v162
	s_delay_alu instid0(VALU_DEP_1) | instskip(SKIP_1) | instid1(VALU_DEP_2)
	v_subrev_nc_u32_e32 v163, 28, v162
	v_sub_nc_u32_e32 v162, 29, v162
	v_lshlrev_b32_e32 v83, v163, v83
	v_bfe_u32 v163, v22, 27, 4
	v_and_b32_e32 v22, 0x80000000, v22
	s_delay_alu instid0(VALU_DEP_2) | instskip(NEXT) | instid1(VALU_DEP_4)
	v_cmp_eq_u32_e32 vcc_lo, 0, v163
	v_dual_cndmask_b32 v162, v163, v162 :: v_dual_and_b32 v83, 7, v83
	s_delay_alu instid0(VALU_DEP_1) | instskip(NEXT) | instid1(VALU_DEP_2)
	v_cndmask_b32_e32 v83, v96, v83, vcc_lo
	v_lshl_add_u32 v96, v162, 23, 0x3b800000
	s_delay_alu instid0(VALU_DEP_2) | instskip(NEXT) | instid1(VALU_DEP_1)
	v_lshlrev_b32_e32 v83, 20, v83
	v_or3_b32 v96, v22, v96, v83
.LBB2_324:                              ;   in Loop: Header=BB2_266 Depth=3
	s_or_b32 exec_lo, exec_lo, s9
	s_delay_alu instid0(VALU_DEP_1) | instskip(SKIP_2) | instid1(VALU_DEP_2)
	v_mul_f32_e32 v22, v0, v96
	v_mov_b32_e32 v96, 0x80
	s_mov_b32 s9, exec_lo
	v_and_b32_e32 v83, 0x7f800000, v22
	s_delay_alu instid0(VALU_DEP_1)
	v_cmpx_ne_u32_e32 0x7f800000, v83
	s_cbranch_execz .LBB2_332
; %bb.325:                              ;   in Loop: Header=BB2_266 Depth=3
	v_mov_b32_e32 v96, 0
	s_mov_b32 s20, exec_lo
	v_cmpx_ne_u32_e32 0, v22
	s_cbranch_execz .LBB2_331
; %bb.326:                              ;   in Loop: Header=BB2_266 Depth=3
	v_bfe_u32 v83, v22, 23, 8
	v_and_b32_e32 v96, 0x7fffff, v22
	s_delay_alu instid0(VALU_DEP_2) | instskip(SKIP_1) | instid1(VALU_DEP_3)
	v_sub_nc_u32_e32 v162, 0x78, v83
	v_cmp_gt_u32_e32 vcc_lo, 0x79, v83
	v_or_b32_e32 v163, 0x800000, v96
	s_delay_alu instid0(VALU_DEP_3) | instskip(SKIP_2) | instid1(VALU_DEP_3)
	v_cndmask_b32_e32 v162, 0, v162, vcc_lo
	v_cmp_eq_u32_e32 vcc_lo, 0, v83
	v_add_nc_u32_e32 v83, 0xffffff89, v83
	v_cndmask_b32_e64 v162, v162, 0x77, vcc_lo
	v_cndmask_b32_e32 v96, v163, v96, vcc_lo
	s_delay_alu instid0(VALU_DEP_3) | instskip(NEXT) | instid1(VALU_DEP_3)
	v_cndmask_b32_e64 v83, v83, 0xffffff8a, vcc_lo
	v_lshl_add_u32 v163, 0x100000, v162, -1
	s_delay_alu instid0(VALU_DEP_3) | instskip(SKIP_1) | instid1(VALU_DEP_4)
	v_lshrrev_b32_e32 v164, v162, v96
	v_lshlrev_b32_e64 v166, v162, 0x80000
	v_add_nc_u32_e32 v162, v162, v83
	s_delay_alu instid0(VALU_DEP_4) | instskip(NEXT) | instid1(VALU_DEP_4)
	v_and_b32_e32 v96, v163, v96
	v_bfe_u32 v165, v164, 20, 1
	s_delay_alu instid0(VALU_DEP_2) | instskip(NEXT) | instid1(VALU_DEP_2)
	v_cmp_eq_u32_e64 s8, v96, v166
	v_add_nc_u32_e32 v163, -1, v165
	s_delay_alu instid0(VALU_DEP_1) | instskip(SKIP_2) | instid1(VALU_DEP_2)
	v_cndmask_b32_e64 v96, 0, v163, s8
	v_lshrrev_b32_e32 v163, 23, v164
	s_mov_b32 s8, exec_lo
	v_add_nc_u32_e32 v96, v96, v164
	s_delay_alu instid0(VALU_DEP_2) | instskip(NEXT) | instid1(VALU_DEP_2)
	v_xor_b32_e32 v163, 1, v163
	v_and_b32_e32 v83, 0xfffff, v96
	s_delay_alu instid0(VALU_DEP_1) | instskip(NEXT) | instid1(VALU_DEP_3)
	v_add_nc_u32_e32 v96, v83, v164
                                        ; implicit-def: $vgpr83
	v_cmpx_ne_u32_e64 v162, v163
	s_xor_b32 s8, exec_lo, s8
; %bb.327:                              ;   in Loop: Header=BB2_266 Depth=3
	s_delay_alu instid0(VALU_DEP_2) | instskip(SKIP_2) | instid1(VALU_DEP_2)
	v_cmp_lt_u32_e32 vcc_lo, 0xffffff, v96
	v_sub_nc_u32_e32 v83, v162, v163
	v_cndmask_b32_e64 v162, 0, 1, vcc_lo
	v_add_co_ci_u32_e32 v83, vcc_lo, 0, v83, vcc_lo
	s_delay_alu instid0(VALU_DEP_2)
	v_lshrrev_b32_e32 v96, v162, v96
; %bb.328:                              ;   in Loop: Header=BB2_266 Depth=3
	s_and_not1_saveexec_b32 s8, s8
; %bb.329:                              ;   in Loop: Header=BB2_266 Depth=3
	s_delay_alu instid0(VALU_DEP_1)
	v_bfe_u32 v83, v96, 23, 1
; %bb.330:                              ;   in Loop: Header=BB2_266 Depth=3
	s_or_b32 exec_lo, exec_lo, s8
	v_lshrrev_b32_e32 v96, 20, v96
	s_delay_alu instid0(VALU_DEP_2) | instskip(SKIP_2) | instid1(VALU_DEP_4)
	v_cmp_gt_i32_e32 vcc_lo, 16, v83
	v_lshrrev_b32_e32 v22, 24, v22
	v_min_i32_e32 v162, 15, v83
	v_cndmask_b32_e32 v96, 7, v96, vcc_lo
	s_delay_alu instid0(VALU_DEP_3) | instskip(NEXT) | instid1(VALU_DEP_3)
	v_and_b32_e32 v22, 0x80, v22
	v_lshlrev_b32_e32 v162, 3, v162
	s_delay_alu instid0(VALU_DEP_3) | instskip(NEXT) | instid1(VALU_DEP_1)
	v_or_b32_e32 v83, v83, v96
	v_cmp_ne_u32_e32 vcc_lo, 0, v83
	v_and_b32_e32 v163, 7, v96
	s_delay_alu instid0(VALU_DEP_1) | instskip(NEXT) | instid1(VALU_DEP_1)
	v_or3_b32 v22, v162, v22, v163
	v_cndmask_b32_e32 v96, 0, v22, vcc_lo
.LBB2_331:                              ;   in Loop: Header=BB2_266 Depth=3
	s_or_b32 exec_lo, exec_lo, s20
.LBB2_332:                              ;   in Loop: Header=BB2_266 Depth=3
	s_delay_alu instid0(SALU_CYCLE_1) | instskip(SKIP_3) | instid1(VALU_DEP_1)
	s_or_b32 exec_lo, exec_lo, s9
	v_alignbit_b32 v83, v160, v161, v20
	s_mov_b32 s8, 0
	s_mov_b32 s20, exec_lo
                                        ; implicit-def: $sgpr9
	v_and_b32_e32 v22, 0xff, v83
	s_delay_alu instid0(VALU_DEP_1)
	v_cmpx_lt_i16_e32 0x7f, v22
	s_xor_b32 s20, exec_lo, s20
	s_cbranch_execnz .LBB2_522
; %bb.333:                              ;   in Loop: Header=BB2_266 Depth=3
	s_or_saveexec_b32 s20, s20
	v_mov_b32_e32 v20, s9
	s_xor_b32 exec_lo, exec_lo, s20
	s_cbranch_execnz .LBB2_525
.LBB2_334:                              ;   in Loop: Header=BB2_266 Depth=3
	s_or_b32 exec_lo, exec_lo, s20
	s_and_saveexec_b32 s9, s8
	s_cbranch_execz .LBB2_336
.LBB2_335:                              ;   in Loop: Header=BB2_266 Depth=3
	v_and_b32_e32 v20, 7, v83
	v_bfe_u32 v161, v83, 3, 4
	v_lshlrev_b32_e32 v162, 24, v83
	s_delay_alu instid0(VALU_DEP_3) | instskip(NEXT) | instid1(VALU_DEP_3)
	v_clz_i32_u32_e32 v22, v20
	v_cmp_eq_u32_e32 vcc_lo, 0, v161
	s_delay_alu instid0(VALU_DEP_2) | instskip(NEXT) | instid1(VALU_DEP_1)
	v_min_u32_e32 v22, 32, v22
	v_subrev_nc_u32_e32 v160, 28, v22
	v_sub_nc_u32_e32 v22, 29, v22
	s_delay_alu instid0(VALU_DEP_2) | instskip(NEXT) | instid1(VALU_DEP_2)
	v_lshlrev_b32_e32 v160, v160, v83
	v_cndmask_b32_e32 v22, v161, v22, vcc_lo
	s_delay_alu instid0(VALU_DEP_2) | instskip(NEXT) | instid1(VALU_DEP_2)
	v_and_b32_e32 v160, 7, v160
	v_lshl_add_u32 v22, v22, 23, 0x3b800000
	s_delay_alu instid0(VALU_DEP_2) | instskip(SKIP_1) | instid1(VALU_DEP_2)
	v_cndmask_b32_e32 v20, v20, v160, vcc_lo
	v_and_b32_e32 v160, 0x80000000, v162
	v_lshlrev_b32_e32 v20, 20, v20
	s_delay_alu instid0(VALU_DEP_1)
	v_or3_b32 v20, v160, v22, v20
.LBB2_336:                              ;   in Loop: Header=BB2_266 Depth=3
	s_or_b32 exec_lo, exec_lo, s9
	s_delay_alu instid0(VALU_DEP_1) | instskip(NEXT) | instid1(VALU_DEP_1)
	v_mul_f32_e32 v20, v0, v20
	v_and_b32_e32 v22, 0x7f800000, v20
	s_delay_alu instid0(VALU_DEP_1)
	v_cmp_ne_u32_e32 vcc_lo, 0x7f800000, v22
	v_mov_b32_e32 v22, 0x80
	s_and_saveexec_b32 s9, vcc_lo
	s_cbranch_execz .LBB2_344
; %bb.337:                              ;   in Loop: Header=BB2_266 Depth=3
	v_mov_b32_e32 v22, 0
	s_mov_b32 s20, exec_lo
	v_cmpx_ne_u32_e32 0, v20
	s_cbranch_execz .LBB2_343
; %bb.338:                              ;   in Loop: Header=BB2_266 Depth=3
	v_bfe_u32 v22, v20, 23, 8
	s_delay_alu instid0(VALU_DEP_1) | instskip(SKIP_1) | instid1(VALU_DEP_2)
	v_sub_nc_u32_e32 v161, 0x78, v22
	v_cmp_gt_u32_e32 vcc_lo, 0x79, v22
	v_dual_cndmask_b32 v161, 0, v161 :: v_dual_and_b32 v160, 0x7fffff, v20
	s_delay_alu instid0(VALU_DEP_1) | instskip(SKIP_2) | instid1(VALU_DEP_4)
	v_or_b32_e32 v162, 0x800000, v160
	v_cmp_eq_u32_e32 vcc_lo, 0, v22
	v_add_nc_u32_e32 v22, 0xffffff89, v22
	v_cndmask_b32_e64 v161, v161, 0x77, vcc_lo
	s_delay_alu instid0(VALU_DEP_2) | instskip(SKIP_1) | instid1(VALU_DEP_3)
	v_cndmask_b32_e64 v22, v22, 0xffffff8a, vcc_lo
	v_cndmask_b32_e32 v160, v162, v160, vcc_lo
	v_lshl_add_u32 v162, 0x100000, v161, -1
	v_lshlrev_b32_e64 v165, v161, 0x80000
	s_delay_alu instid0(VALU_DEP_3) | instskip(SKIP_1) | instid1(VALU_DEP_4)
	v_lshrrev_b32_e32 v163, v161, v160
	v_add_nc_u32_e32 v161, v161, v22
	v_and_b32_e32 v160, v162, v160
	s_delay_alu instid0(VALU_DEP_3) | instskip(NEXT) | instid1(VALU_DEP_2)
	v_bfe_u32 v164, v163, 20, 1
	v_cmp_eq_u32_e64 s8, v160, v165
	s_delay_alu instid0(VALU_DEP_2) | instskip(NEXT) | instid1(VALU_DEP_1)
	v_add_nc_u32_e32 v162, -1, v164
	v_cndmask_b32_e64 v160, 0, v162, s8
	v_lshrrev_b32_e32 v162, 23, v163
	s_mov_b32 s8, exec_lo
	s_delay_alu instid0(VALU_DEP_2) | instskip(NEXT) | instid1(VALU_DEP_2)
	v_add_nc_u32_e32 v160, v160, v163
	v_xor_b32_e32 v162, 1, v162
	s_delay_alu instid0(VALU_DEP_2) | instskip(NEXT) | instid1(VALU_DEP_1)
	v_and_b32_e32 v22, 0xfffff, v160
	v_add_nc_u32_e32 v160, v22, v163
                                        ; implicit-def: $vgpr22
	s_delay_alu instid0(VALU_DEP_3)
	v_cmpx_ne_u32_e64 v161, v162
	s_xor_b32 s8, exec_lo, s8
; %bb.339:                              ;   in Loop: Header=BB2_266 Depth=3
	s_delay_alu instid0(VALU_DEP_2) | instskip(SKIP_2) | instid1(VALU_DEP_2)
	v_cmp_lt_u32_e32 vcc_lo, 0xffffff, v160
	v_sub_nc_u32_e32 v22, v161, v162
	v_cndmask_b32_e64 v161, 0, 1, vcc_lo
	v_add_co_ci_u32_e32 v22, vcc_lo, 0, v22, vcc_lo
	s_delay_alu instid0(VALU_DEP_2)
	v_lshrrev_b32_e32 v160, v161, v160
; %bb.340:                              ;   in Loop: Header=BB2_266 Depth=3
	s_and_not1_saveexec_b32 s8, s8
; %bb.341:                              ;   in Loop: Header=BB2_266 Depth=3
	s_delay_alu instid0(VALU_DEP_1)
	v_bfe_u32 v22, v160, 23, 1
; %bb.342:                              ;   in Loop: Header=BB2_266 Depth=3
	s_or_b32 exec_lo, exec_lo, s8
	v_lshrrev_b32_e32 v160, 20, v160
	s_delay_alu instid0(VALU_DEP_2) | instskip(SKIP_2) | instid1(VALU_DEP_2)
	v_cmp_gt_i32_e32 vcc_lo, 16, v22
	v_min_i32_e32 v161, 15, v22
	v_lshrrev_b32_e32 v20, 24, v20
	v_dual_cndmask_b32 v160, 7, v160 :: v_dual_lshlrev_b32 v161, 3, v161
	s_delay_alu instid0(VALU_DEP_2) | instskip(NEXT) | instid1(VALU_DEP_2)
	v_and_b32_e32 v20, 0x80, v20
	v_or_b32_e32 v22, v22, v160
	v_and_b32_e32 v162, 7, v160
	s_delay_alu instid0(VALU_DEP_2) | instskip(SKIP_1) | instid1(VALU_DEP_1)
	v_cmp_ne_u32_e32 vcc_lo, 0, v22
	v_and_b32_e32 v161, 0xf8, v161
	v_or3_b32 v20, v161, v20, v162
	s_delay_alu instid0(VALU_DEP_1)
	v_cndmask_b32_e32 v22, 0, v20, vcc_lo
.LBB2_343:                              ;   in Loop: Header=BB2_266 Depth=3
	s_or_b32 exec_lo, exec_lo, s20
.LBB2_344:                              ;   in Loop: Header=BB2_266 Depth=3
	s_delay_alu instid0(SALU_CYCLE_1) | instskip(SKIP_3) | instid1(VALU_DEP_1)
	s_or_b32 exec_lo, exec_lo, s9
	v_lshrrev_b16 v20, 8, v83
	s_mov_b32 s8, 0
	s_mov_b32 s20, exec_lo
                                        ; implicit-def: $sgpr9
	v_cmpx_lt_i16_e32 0x7f, v20
	s_xor_b32 s20, exec_lo, s20
	s_cbranch_execnz .LBB2_526
; %bb.345:                              ;   in Loop: Header=BB2_266 Depth=3
	s_or_saveexec_b32 s20, s20
	v_mov_b32_e32 v160, s9
	s_xor_b32 exec_lo, exec_lo, s20
	s_cbranch_execnz .LBB2_529
.LBB2_346:                              ;   in Loop: Header=BB2_266 Depth=3
	s_or_b32 exec_lo, exec_lo, s20
	s_and_saveexec_b32 s9, s8
	s_cbranch_execz .LBB2_348
.LBB2_347:                              ;   in Loop: Header=BB2_266 Depth=3
	v_and_b32_e32 v160, 0xffff, v20
	v_lshlrev_b32_e32 v20, 24, v20
	s_delay_alu instid0(VALU_DEP_2) | instskip(NEXT) | instid1(VALU_DEP_2)
	v_and_b32_e32 v161, 7, v160
	v_and_b32_e32 v20, 0x80000000, v20
	s_delay_alu instid0(VALU_DEP_2) | instskip(NEXT) | instid1(VALU_DEP_1)
	v_clz_i32_u32_e32 v162, v161
	v_min_u32_e32 v162, 32, v162
	s_delay_alu instid0(VALU_DEP_1) | instskip(SKIP_1) | instid1(VALU_DEP_2)
	v_subrev_nc_u32_e32 v163, 28, v162
	v_sub_nc_u32_e32 v162, 29, v162
	v_lshlrev_b32_e32 v163, v163, v160
	v_bfe_u32 v160, v160, 3, 4
	s_delay_alu instid0(VALU_DEP_2) | instskip(NEXT) | instid1(VALU_DEP_2)
	v_and_b32_e32 v163, 7, v163
	v_cmp_eq_u32_e32 vcc_lo, 0, v160
	s_delay_alu instid0(VALU_DEP_2) | instskip(NEXT) | instid1(VALU_DEP_1)
	v_dual_cndmask_b32 v160, v160, v162 :: v_dual_cndmask_b32 v161, v161, v163
	v_lshl_add_u32 v160, v160, 23, 0x3b800000
	s_delay_alu instid0(VALU_DEP_2) | instskip(NEXT) | instid1(VALU_DEP_1)
	v_lshlrev_b32_e32 v161, 20, v161
	v_or3_b32 v160, v20, v160, v161
.LBB2_348:                              ;   in Loop: Header=BB2_266 Depth=3
	s_or_b32 exec_lo, exec_lo, s9
	s_delay_alu instid0(VALU_DEP_1) | instskip(NEXT) | instid1(VALU_DEP_1)
	v_mul_f32_e32 v20, v0, v160
	v_and_b32_e32 v160, 0x7f800000, v20
	s_delay_alu instid0(VALU_DEP_1)
	v_cmp_ne_u32_e32 vcc_lo, 0x7f800000, v160
	v_mov_b32_e32 v160, 0x8000
	s_and_saveexec_b32 s9, vcc_lo
	s_cbranch_execz .LBB2_356
; %bb.349:                              ;   in Loop: Header=BB2_266 Depth=3
	v_mov_b32_e32 v160, 0
	s_mov_b32 s20, exec_lo
	v_cmpx_ne_u32_e32 0, v20
	s_cbranch_execz .LBB2_355
; %bb.350:                              ;   in Loop: Header=BB2_266 Depth=3
	v_bfe_u32 v160, v20, 23, 8
	s_delay_alu instid0(VALU_DEP_1) | instskip(SKIP_1) | instid1(VALU_DEP_2)
	v_sub_nc_u32_e32 v162, 0x78, v160
	v_cmp_gt_u32_e32 vcc_lo, 0x79, v160
	v_dual_cndmask_b32 v162, 0, v162 :: v_dual_and_b32 v161, 0x7fffff, v20
	s_delay_alu instid0(VALU_DEP_1) | instskip(SKIP_2) | instid1(VALU_DEP_4)
	v_or_b32_e32 v163, 0x800000, v161
	v_cmp_eq_u32_e32 vcc_lo, 0, v160
	v_add_nc_u32_e32 v160, 0xffffff89, v160
	v_cndmask_b32_e64 v162, v162, 0x77, vcc_lo
	s_delay_alu instid0(VALU_DEP_4) | instskip(NEXT) | instid1(VALU_DEP_3)
	v_cndmask_b32_e32 v161, v163, v161, vcc_lo
	v_cndmask_b32_e64 v160, v160, 0xffffff8a, vcc_lo
	s_delay_alu instid0(VALU_DEP_3) | instskip(NEXT) | instid1(VALU_DEP_3)
	v_lshl_add_u32 v163, 0x100000, v162, -1
	v_lshrrev_b32_e32 v164, v162, v161
	v_lshlrev_b32_e64 v166, v162, 0x80000
	s_delay_alu instid0(VALU_DEP_4) | instskip(NEXT) | instid1(VALU_DEP_4)
	v_add_nc_u32_e32 v162, v162, v160
	v_and_b32_e32 v161, v163, v161
	s_delay_alu instid0(VALU_DEP_4) | instskip(NEXT) | instid1(VALU_DEP_2)
	v_bfe_u32 v165, v164, 20, 1
	v_cmp_eq_u32_e64 s8, v161, v166
	s_delay_alu instid0(VALU_DEP_2) | instskip(NEXT) | instid1(VALU_DEP_1)
	v_add_nc_u32_e32 v163, -1, v165
	v_cndmask_b32_e64 v161, 0, v163, s8
	v_lshrrev_b32_e32 v163, 23, v164
	s_mov_b32 s8, exec_lo
	s_delay_alu instid0(VALU_DEP_2) | instskip(NEXT) | instid1(VALU_DEP_2)
	v_add_nc_u32_e32 v161, v161, v164
	v_xor_b32_e32 v163, 1, v163
	s_delay_alu instid0(VALU_DEP_2) | instskip(NEXT) | instid1(VALU_DEP_1)
	v_and_b32_e32 v160, 0xfffff, v161
	v_add_nc_u32_e32 v161, v160, v164
                                        ; implicit-def: $vgpr160
	s_delay_alu instid0(VALU_DEP_3)
	v_cmpx_ne_u32_e64 v162, v163
	s_xor_b32 s8, exec_lo, s8
; %bb.351:                              ;   in Loop: Header=BB2_266 Depth=3
	s_delay_alu instid0(VALU_DEP_2) | instskip(SKIP_2) | instid1(VALU_DEP_2)
	v_cmp_lt_u32_e32 vcc_lo, 0xffffff, v161
	v_sub_nc_u32_e32 v160, v162, v163
	v_cndmask_b32_e64 v162, 0, 1, vcc_lo
	v_add_co_ci_u32_e32 v160, vcc_lo, 0, v160, vcc_lo
	s_delay_alu instid0(VALU_DEP_2)
	v_lshrrev_b32_e32 v161, v162, v161
; %bb.352:                              ;   in Loop: Header=BB2_266 Depth=3
	s_and_not1_saveexec_b32 s8, s8
; %bb.353:                              ;   in Loop: Header=BB2_266 Depth=3
	s_delay_alu instid0(VALU_DEP_1)
	v_bfe_u32 v160, v161, 23, 1
; %bb.354:                              ;   in Loop: Header=BB2_266 Depth=3
	s_or_b32 exec_lo, exec_lo, s8
	v_lshrrev_b32_e32 v161, 20, v161
	s_delay_alu instid0(VALU_DEP_2) | instskip(SKIP_2) | instid1(VALU_DEP_2)
	v_cmp_gt_i32_e32 vcc_lo, 16, v160
	v_min_i32_e32 v162, 15, v160
	v_lshrrev_b32_e32 v20, 24, v20
	v_dual_cndmask_b32 v161, 7, v161 :: v_dual_lshlrev_b32 v162, 3, v162
	s_delay_alu instid0(VALU_DEP_2) | instskip(NEXT) | instid1(VALU_DEP_2)
	v_and_b32_e32 v20, 0x80, v20
	v_or_b32_e32 v160, v160, v161
	s_delay_alu instid0(VALU_DEP_3) | instskip(NEXT) | instid1(VALU_DEP_2)
	v_and_b32_e32 v162, 0xf8, v162
	v_cmp_ne_u32_e32 vcc_lo, 0, v160
	v_and_b32_e32 v163, 7, v161
	s_delay_alu instid0(VALU_DEP_1) | instskip(NEXT) | instid1(VALU_DEP_1)
	v_or3_b32 v20, v20, v162, v163
	v_lshlrev_b32_e32 v20, 8, v20
	s_delay_alu instid0(VALU_DEP_1)
	v_cndmask_b32_e32 v160, 0, v20, vcc_lo
.LBB2_355:                              ;   in Loop: Header=BB2_266 Depth=3
	s_or_b32 exec_lo, exec_lo, s20
.LBB2_356:                              ;   in Loop: Header=BB2_266 Depth=3
	s_delay_alu instid0(SALU_CYCLE_1) | instskip(SKIP_3) | instid1(VALU_DEP_1)
	s_or_b32 exec_lo, exec_lo, s9
	v_lshrrev_b32_e32 v20, 16, v83
	s_mov_b32 s8, 0
	s_mov_b32 s20, exec_lo
                                        ; implicit-def: $sgpr9
	v_and_b32_e32 v162, 0xff, v20
	s_delay_alu instid0(VALU_DEP_1)
	v_cmpx_lt_i16_e64 0x7f, v162
	s_xor_b32 s20, exec_lo, s20
	s_cbranch_execnz .LBB2_530
; %bb.357:                              ;   in Loop: Header=BB2_266 Depth=3
	s_or_saveexec_b32 s20, s20
	v_mov_b32_e32 v161, s9
	s_xor_b32 exec_lo, exec_lo, s20
	s_cbranch_execnz .LBB2_533
.LBB2_358:                              ;   in Loop: Header=BB2_266 Depth=3
	s_or_b32 exec_lo, exec_lo, s20
	s_and_saveexec_b32 s9, s8
	s_cbranch_execz .LBB2_360
.LBB2_359:                              ;   in Loop: Header=BB2_266 Depth=3
	v_bfe_u32 v161, v83, 16, 3
	v_lshlrev_b32_e32 v164, 8, v83
	s_delay_alu instid0(VALU_DEP_2) | instskip(NEXT) | instid1(VALU_DEP_1)
	v_clz_i32_u32_e32 v162, v161
	v_min_u32_e32 v162, 32, v162
	s_delay_alu instid0(VALU_DEP_1) | instskip(SKIP_1) | instid1(VALU_DEP_2)
	v_subrev_nc_u32_e32 v163, 28, v162
	v_sub_nc_u32_e32 v162, 29, v162
	v_lshlrev_b32_e32 v20, v163, v20
	v_bfe_u32 v163, v83, 19, 4
	s_delay_alu instid0(VALU_DEP_2) | instskip(NEXT) | instid1(VALU_DEP_2)
	v_and_b32_e32 v20, 7, v20
	v_cmp_eq_u32_e32 vcc_lo, 0, v163
	v_cndmask_b32_e32 v162, v163, v162, vcc_lo
	s_delay_alu instid0(VALU_DEP_3) | instskip(SKIP_1) | instid1(VALU_DEP_3)
	v_cndmask_b32_e32 v20, v161, v20, vcc_lo
	v_and_b32_e32 v161, 0x80000000, v164
	v_lshl_add_u32 v162, v162, 23, 0x3b800000
	s_delay_alu instid0(VALU_DEP_3) | instskip(NEXT) | instid1(VALU_DEP_1)
	v_lshlrev_b32_e32 v20, 20, v20
	v_or3_b32 v161, v161, v162, v20
.LBB2_360:                              ;   in Loop: Header=BB2_266 Depth=3
	s_or_b32 exec_lo, exec_lo, s9
	s_delay_alu instid0(VALU_DEP_1) | instskip(NEXT) | instid1(VALU_DEP_1)
	v_mul_f32_e32 v161, v0, v161
	v_and_b32_e32 v20, 0x7f800000, v161
	s_delay_alu instid0(VALU_DEP_1)
	v_cmp_ne_u32_e32 vcc_lo, 0x7f800000, v20
	v_mov_b32_e32 v20, 0x80
	s_and_saveexec_b32 s9, vcc_lo
	s_cbranch_execz .LBB2_368
; %bb.361:                              ;   in Loop: Header=BB2_266 Depth=3
	v_mov_b32_e32 v20, 0
	s_mov_b32 s20, exec_lo
	v_cmpx_ne_u32_e32 0, v161
	s_cbranch_execz .LBB2_367
; %bb.362:                              ;   in Loop: Header=BB2_266 Depth=3
	v_bfe_u32 v20, v161, 23, 8
	s_delay_alu instid0(VALU_DEP_1) | instskip(SKIP_1) | instid1(VALU_DEP_2)
	v_sub_nc_u32_e32 v163, 0x78, v20
	v_cmp_gt_u32_e32 vcc_lo, 0x79, v20
	v_dual_cndmask_b32 v163, 0, v163 :: v_dual_and_b32 v162, 0x7fffff, v161
	s_delay_alu instid0(VALU_DEP_1) | instskip(SKIP_2) | instid1(VALU_DEP_4)
	v_or_b32_e32 v164, 0x800000, v162
	v_cmp_eq_u32_e32 vcc_lo, 0, v20
	v_add_nc_u32_e32 v20, 0xffffff89, v20
	v_cndmask_b32_e64 v163, v163, 0x77, vcc_lo
	s_delay_alu instid0(VALU_DEP_2) | instskip(SKIP_1) | instid1(VALU_DEP_3)
	v_cndmask_b32_e64 v20, v20, 0xffffff8a, vcc_lo
	v_cndmask_b32_e32 v162, v164, v162, vcc_lo
	v_lshl_add_u32 v164, 0x100000, v163, -1
	v_lshlrev_b32_e64 v167, v163, 0x80000
	s_delay_alu instid0(VALU_DEP_3) | instskip(SKIP_1) | instid1(VALU_DEP_4)
	v_lshrrev_b32_e32 v165, v163, v162
	v_add_nc_u32_e32 v163, v163, v20
	v_and_b32_e32 v162, v164, v162
	s_delay_alu instid0(VALU_DEP_3) | instskip(NEXT) | instid1(VALU_DEP_2)
	v_bfe_u32 v166, v165, 20, 1
	v_cmp_eq_u32_e64 s8, v162, v167
	s_delay_alu instid0(VALU_DEP_2) | instskip(NEXT) | instid1(VALU_DEP_1)
	v_add_nc_u32_e32 v164, -1, v166
	v_cndmask_b32_e64 v162, 0, v164, s8
	v_lshrrev_b32_e32 v164, 23, v165
	s_mov_b32 s8, exec_lo
	s_delay_alu instid0(VALU_DEP_2) | instskip(NEXT) | instid1(VALU_DEP_2)
	v_add_nc_u32_e32 v162, v162, v165
	v_xor_b32_e32 v164, 1, v164
	s_delay_alu instid0(VALU_DEP_2) | instskip(NEXT) | instid1(VALU_DEP_1)
	v_and_b32_e32 v20, 0xfffff, v162
	v_add_nc_u32_e32 v162, v20, v165
                                        ; implicit-def: $vgpr20
	s_delay_alu instid0(VALU_DEP_3)
	v_cmpx_ne_u32_e64 v163, v164
	s_xor_b32 s8, exec_lo, s8
; %bb.363:                              ;   in Loop: Header=BB2_266 Depth=3
	s_delay_alu instid0(VALU_DEP_2) | instskip(SKIP_2) | instid1(VALU_DEP_2)
	v_cmp_lt_u32_e32 vcc_lo, 0xffffff, v162
	v_sub_nc_u32_e32 v20, v163, v164
	v_cndmask_b32_e64 v163, 0, 1, vcc_lo
	v_add_co_ci_u32_e32 v20, vcc_lo, 0, v20, vcc_lo
	s_delay_alu instid0(VALU_DEP_2)
	v_lshrrev_b32_e32 v162, v163, v162
; %bb.364:                              ;   in Loop: Header=BB2_266 Depth=3
	s_and_not1_saveexec_b32 s8, s8
; %bb.365:                              ;   in Loop: Header=BB2_266 Depth=3
	s_delay_alu instid0(VALU_DEP_1)
	v_bfe_u32 v20, v162, 23, 1
; %bb.366:                              ;   in Loop: Header=BB2_266 Depth=3
	s_or_b32 exec_lo, exec_lo, s8
	v_lshrrev_b32_e32 v162, 20, v162
	s_delay_alu instid0(VALU_DEP_2) | instskip(SKIP_2) | instid1(VALU_DEP_2)
	v_cmp_gt_i32_e32 vcc_lo, 16, v20
	v_min_i32_e32 v163, 15, v20
	v_lshrrev_b32_e32 v161, 24, v161
	v_dual_cndmask_b32 v162, 7, v162 :: v_dual_lshlrev_b32 v163, 3, v163
	s_delay_alu instid0(VALU_DEP_2) | instskip(NEXT) | instid1(VALU_DEP_2)
	v_and_b32_e32 v161, 0x80, v161
	v_or_b32_e32 v20, v20, v162
	v_and_b32_e32 v164, 7, v162
	s_delay_alu instid0(VALU_DEP_2) | instskip(SKIP_1) | instid1(VALU_DEP_1)
	v_cmp_ne_u32_e32 vcc_lo, 0, v20
	v_and_b32_e32 v163, 0xf8, v163
	v_or3_b32 v161, v163, v161, v164
	s_delay_alu instid0(VALU_DEP_1)
	v_cndmask_b32_e32 v20, 0, v161, vcc_lo
.LBB2_367:                              ;   in Loop: Header=BB2_266 Depth=3
	s_or_b32 exec_lo, exec_lo, s20
.LBB2_368:                              ;   in Loop: Header=BB2_266 Depth=3
	s_delay_alu instid0(SALU_CYCLE_1) | instskip(SKIP_3) | instid1(VALU_DEP_1)
	s_or_b32 exec_lo, exec_lo, s9
	v_lshrrev_b32_e32 v161, 24, v83
	s_mov_b32 s8, 0
	s_mov_b32 s20, exec_lo
                                        ; implicit-def: $sgpr9
	v_cmpx_lt_i16_e64 0x7f, v161
	s_xor_b32 s20, exec_lo, s20
	s_cbranch_execnz .LBB2_534
; %bb.369:                              ;   in Loop: Header=BB2_266 Depth=3
	s_or_saveexec_b32 s20, s20
	v_mov_b32_e32 v162, s9
	s_xor_b32 exec_lo, exec_lo, s20
	s_cbranch_execnz .LBB2_537
.LBB2_370:                              ;   in Loop: Header=BB2_266 Depth=3
	s_or_b32 exec_lo, exec_lo, s20
	s_and_saveexec_b32 s9, s8
	s_cbranch_execz .LBB2_372
.LBB2_371:                              ;   in Loop: Header=BB2_266 Depth=3
	v_bfe_u32 v162, v83, 24, 3
	s_delay_alu instid0(VALU_DEP_1) | instskip(NEXT) | instid1(VALU_DEP_1)
	v_clz_i32_u32_e32 v163, v162
	v_min_u32_e32 v163, 32, v163
	s_delay_alu instid0(VALU_DEP_1) | instskip(SKIP_1) | instid1(VALU_DEP_2)
	v_subrev_nc_u32_e32 v164, 28, v163
	v_sub_nc_u32_e32 v163, 29, v163
	v_lshlrev_b32_e32 v161, v164, v161
	v_bfe_u32 v164, v83, 27, 4
	v_and_b32_e32 v83, 0x80000000, v83
	s_delay_alu instid0(VALU_DEP_3) | instskip(NEXT) | instid1(VALU_DEP_3)
	v_and_b32_e32 v161, 7, v161
	v_cmp_eq_u32_e32 vcc_lo, 0, v164
	v_cndmask_b32_e32 v163, v164, v163, vcc_lo
	s_delay_alu instid0(VALU_DEP_3) | instskip(NEXT) | instid1(VALU_DEP_2)
	v_cndmask_b32_e32 v161, v162, v161, vcc_lo
	v_lshl_add_u32 v162, v163, 23, 0x3b800000
	s_delay_alu instid0(VALU_DEP_2) | instskip(NEXT) | instid1(VALU_DEP_1)
	v_lshlrev_b32_e32 v161, 20, v161
	v_or3_b32 v162, v83, v162, v161
.LBB2_372:                              ;   in Loop: Header=BB2_266 Depth=3
	s_or_b32 exec_lo, exec_lo, s9
	s_delay_alu instid0(VALU_DEP_1) | instskip(NEXT) | instid1(VALU_DEP_1)
	v_mul_f32_e32 v161, v0, v162
	v_and_b32_e32 v83, 0x7f800000, v161
	s_delay_alu instid0(VALU_DEP_1)
	v_cmp_ne_u32_e32 vcc_lo, 0x7f800000, v83
	v_mov_b32_e32 v83, 0x8000
	s_and_saveexec_b32 s9, vcc_lo
	s_cbranch_execz .LBB2_380
; %bb.373:                              ;   in Loop: Header=BB2_266 Depth=3
	v_mov_b32_e32 v83, 0
	s_mov_b32 s20, exec_lo
	v_cmpx_ne_u32_e32 0, v161
	s_cbranch_execz .LBB2_379
; %bb.374:                              ;   in Loop: Header=BB2_266 Depth=3
	v_bfe_u32 v83, v161, 23, 8
	s_delay_alu instid0(VALU_DEP_1) | instskip(SKIP_1) | instid1(VALU_DEP_2)
	v_sub_nc_u32_e32 v163, 0x78, v83
	v_cmp_gt_u32_e32 vcc_lo, 0x79, v83
	v_dual_cndmask_b32 v163, 0, v163 :: v_dual_and_b32 v162, 0x7fffff, v161
	s_delay_alu instid0(VALU_DEP_1) | instskip(SKIP_2) | instid1(VALU_DEP_4)
	v_or_b32_e32 v164, 0x800000, v162
	v_cmp_eq_u32_e32 vcc_lo, 0, v83
	v_add_nc_u32_e32 v83, 0xffffff89, v83
	v_cndmask_b32_e64 v163, v163, 0x77, vcc_lo
	s_delay_alu instid0(VALU_DEP_4) | instskip(NEXT) | instid1(VALU_DEP_3)
	v_cndmask_b32_e32 v162, v164, v162, vcc_lo
	v_cndmask_b32_e64 v83, v83, 0xffffff8a, vcc_lo
	s_delay_alu instid0(VALU_DEP_3) | instskip(NEXT) | instid1(VALU_DEP_3)
	v_lshl_add_u32 v164, 0x100000, v163, -1
	v_lshrrev_b32_e32 v165, v163, v162
	v_lshlrev_b32_e64 v167, v163, 0x80000
	s_delay_alu instid0(VALU_DEP_4) | instskip(NEXT) | instid1(VALU_DEP_4)
	v_add_nc_u32_e32 v163, v163, v83
	v_and_b32_e32 v162, v164, v162
	s_delay_alu instid0(VALU_DEP_4) | instskip(NEXT) | instid1(VALU_DEP_2)
	v_bfe_u32 v166, v165, 20, 1
	v_cmp_eq_u32_e64 s8, v162, v167
	s_delay_alu instid0(VALU_DEP_2) | instskip(NEXT) | instid1(VALU_DEP_1)
	v_add_nc_u32_e32 v164, -1, v166
	v_cndmask_b32_e64 v162, 0, v164, s8
	v_lshrrev_b32_e32 v164, 23, v165
	s_mov_b32 s8, exec_lo
	s_delay_alu instid0(VALU_DEP_2) | instskip(NEXT) | instid1(VALU_DEP_2)
	v_add_nc_u32_e32 v162, v162, v165
	v_xor_b32_e32 v164, 1, v164
	s_delay_alu instid0(VALU_DEP_2) | instskip(NEXT) | instid1(VALU_DEP_1)
	v_and_b32_e32 v83, 0xfffff, v162
	v_add_nc_u32_e32 v162, v83, v165
                                        ; implicit-def: $vgpr83
	s_delay_alu instid0(VALU_DEP_3)
	v_cmpx_ne_u32_e64 v163, v164
	s_xor_b32 s8, exec_lo, s8
; %bb.375:                              ;   in Loop: Header=BB2_266 Depth=3
	s_delay_alu instid0(VALU_DEP_2) | instskip(SKIP_2) | instid1(VALU_DEP_2)
	v_cmp_lt_u32_e32 vcc_lo, 0xffffff, v162
	v_sub_nc_u32_e32 v83, v163, v164
	v_cndmask_b32_e64 v163, 0, 1, vcc_lo
	v_add_co_ci_u32_e32 v83, vcc_lo, 0, v83, vcc_lo
	s_delay_alu instid0(VALU_DEP_2)
	v_lshrrev_b32_e32 v162, v163, v162
; %bb.376:                              ;   in Loop: Header=BB2_266 Depth=3
	s_and_not1_saveexec_b32 s8, s8
; %bb.377:                              ;   in Loop: Header=BB2_266 Depth=3
	s_delay_alu instid0(VALU_DEP_1)
	v_bfe_u32 v83, v162, 23, 1
; %bb.378:                              ;   in Loop: Header=BB2_266 Depth=3
	s_or_b32 exec_lo, exec_lo, s8
	v_lshrrev_b32_e32 v162, 20, v162
	s_delay_alu instid0(VALU_DEP_2) | instskip(SKIP_2) | instid1(VALU_DEP_2)
	v_cmp_gt_i32_e32 vcc_lo, 16, v83
	v_min_i32_e32 v163, 15, v83
	v_lshrrev_b32_e32 v161, 24, v161
	v_dual_cndmask_b32 v162, 7, v162 :: v_dual_lshlrev_b32 v163, 3, v163
	s_delay_alu instid0(VALU_DEP_2) | instskip(NEXT) | instid1(VALU_DEP_2)
	v_and_b32_e32 v161, 0x80, v161
	v_or_b32_e32 v83, v83, v162
	s_delay_alu instid0(VALU_DEP_3) | instskip(NEXT) | instid1(VALU_DEP_2)
	v_and_b32_e32 v163, 0xf8, v163
	v_cmp_ne_u32_e32 vcc_lo, 0, v83
	v_and_b32_e32 v164, 7, v162
	s_delay_alu instid0(VALU_DEP_1) | instskip(NEXT) | instid1(VALU_DEP_1)
	v_or3_b32 v161, v161, v163, v164
	v_lshlrev_b32_e32 v161, 8, v161
	s_delay_alu instid0(VALU_DEP_1)
	v_cndmask_b32_e32 v83, 0, v161, vcc_lo
.LBB2_379:                              ;   in Loop: Header=BB2_266 Depth=3
	s_or_b32 exec_lo, exec_lo, s20
.LBB2_380:                              ;   in Loop: Header=BB2_266 Depth=3
	s_delay_alu instid0(SALU_CYCLE_1) | instskip(SKIP_3) | instid1(VALU_DEP_1)
	s_or_b32 exec_lo, exec_lo, s9
	v_and_b32_e32 v162, 0xff, v19
	s_mov_b32 s8, 0
	s_mov_b32 s20, exec_lo
                                        ; implicit-def: $sgpr9
	v_cmpx_lt_i16_e64 0x7f, v162
	s_xor_b32 s20, exec_lo, s20
	s_cbranch_execnz .LBB2_538
; %bb.381:                              ;   in Loop: Header=BB2_266 Depth=3
	s_or_saveexec_b32 s20, s20
	v_mov_b32_e32 v161, s9
	s_xor_b32 exec_lo, exec_lo, s20
	s_cbranch_execnz .LBB2_541
.LBB2_382:                              ;   in Loop: Header=BB2_266 Depth=3
	s_or_b32 exec_lo, exec_lo, s20
	s_and_saveexec_b32 s9, s8
	s_cbranch_execz .LBB2_384
.LBB2_383:                              ;   in Loop: Header=BB2_266 Depth=3
	v_bfe_u32 v164, v19, 3, 4
	v_lshlrev_b32_e32 v165, 24, v19
	s_delay_alu instid0(VALU_DEP_2) | instskip(SKIP_1) | instid1(VALU_DEP_1)
	v_cmp_eq_u32_e32 vcc_lo, 0, v164
	v_and_b32_e32 v161, 7, v19
	v_clz_i32_u32_e32 v162, v161
	s_delay_alu instid0(VALU_DEP_1) | instskip(NEXT) | instid1(VALU_DEP_1)
	v_min_u32_e32 v162, 32, v162
	v_subrev_nc_u32_e32 v163, 28, v162
	v_sub_nc_u32_e32 v162, 29, v162
	s_delay_alu instid0(VALU_DEP_1) | instskip(NEXT) | instid1(VALU_DEP_1)
	v_dual_cndmask_b32 v162, v164, v162 :: v_dual_lshlrev_b32 v163, v163, v19
	v_and_b32_e32 v163, 7, v163
	s_delay_alu instid0(VALU_DEP_2) | instskip(NEXT) | instid1(VALU_DEP_2)
	v_lshl_add_u32 v162, v162, 23, 0x3b800000
	v_cndmask_b32_e32 v161, v161, v163, vcc_lo
	v_and_b32_e32 v163, 0x80000000, v165
	s_delay_alu instid0(VALU_DEP_2) | instskip(NEXT) | instid1(VALU_DEP_1)
	v_lshlrev_b32_e32 v161, 20, v161
	v_or3_b32 v161, v163, v162, v161
.LBB2_384:                              ;   in Loop: Header=BB2_266 Depth=3
	s_or_b32 exec_lo, exec_lo, s9
	v_and_b32_e32 v163, 0xff, v17
	s_mov_b32 s8, 0
	s_mov_b32 s20, exec_lo
                                        ; implicit-def: $sgpr9
	s_delay_alu instid0(VALU_DEP_1)
	v_cmpx_lt_i16_e64 0x7f, v163
	s_xor_b32 s20, exec_lo, s20
	s_cbranch_execnz .LBB2_542
; %bb.385:                              ;   in Loop: Header=BB2_266 Depth=3
	s_or_saveexec_b32 s20, s20
	v_mov_b32_e32 v162, s9
	s_xor_b32 exec_lo, exec_lo, s20
	s_cbranch_execnz .LBB2_545
.LBB2_386:                              ;   in Loop: Header=BB2_266 Depth=3
	s_or_b32 exec_lo, exec_lo, s20
	s_and_saveexec_b32 s9, s8
	s_cbranch_execz .LBB2_388
.LBB2_387:                              ;   in Loop: Header=BB2_266 Depth=3
	v_bfe_u32 v165, v17, 3, 4
	s_delay_alu instid0(VALU_DEP_1) | instskip(SKIP_1) | instid1(VALU_DEP_1)
	v_cmp_eq_u32_e32 vcc_lo, 0, v165
	v_and_b32_e32 v162, 7, v17
	v_clz_i32_u32_e32 v163, v162
	s_delay_alu instid0(VALU_DEP_1) | instskip(NEXT) | instid1(VALU_DEP_1)
	v_min_u32_e32 v163, 32, v163
	v_subrev_nc_u32_e32 v164, 28, v163
	v_sub_nc_u32_e32 v163, 29, v163
	s_delay_alu instid0(VALU_DEP_1) | instskip(NEXT) | instid1(VALU_DEP_1)
	v_dual_cndmask_b32 v163, v165, v163 :: v_dual_lshlrev_b32 v164, v164, v17
	v_and_b32_e32 v164, 7, v164
	v_lshlrev_b32_e32 v17, 24, v17
	s_delay_alu instid0(VALU_DEP_3) | instskip(NEXT) | instid1(VALU_DEP_2)
	v_lshl_add_u32 v163, v163, 23, 0x3b800000
	v_dual_cndmask_b32 v162, v162, v164 :: v_dual_and_b32 v17, 0x80000000, v17
	s_delay_alu instid0(VALU_DEP_1) | instskip(NEXT) | instid1(VALU_DEP_1)
	v_lshlrev_b32_e32 v162, 20, v162
	v_or3_b32 v162, v17, v163, v162
.LBB2_388:                              ;   in Loop: Header=BB2_266 Depth=3
	s_or_b32 exec_lo, exec_lo, s9
	s_delay_alu instid0(VALU_DEP_1) | instskip(NEXT) | instid1(VALU_DEP_1)
	v_add_f32_e32 v161, v161, v162
	v_and_b32_e32 v17, 0x7f800000, v161
	s_delay_alu instid0(VALU_DEP_1)
	v_cmp_ne_u32_e32 vcc_lo, 0x7f800000, v17
	v_mov_b32_e32 v17, 0x80
	s_and_saveexec_b32 s9, vcc_lo
	s_cbranch_execz .LBB2_396
; %bb.389:                              ;   in Loop: Header=BB2_266 Depth=3
	v_mov_b32_e32 v17, 0
	s_mov_b32 s20, exec_lo
	v_cmpx_ne_u32_e32 0, v161
	s_cbranch_execz .LBB2_395
; %bb.390:                              ;   in Loop: Header=BB2_266 Depth=3
	v_bfe_u32 v17, v161, 23, 8
	s_delay_alu instid0(VALU_DEP_1) | instskip(SKIP_1) | instid1(VALU_DEP_2)
	v_sub_nc_u32_e32 v163, 0x78, v17
	v_cmp_gt_u32_e32 vcc_lo, 0x79, v17
	v_dual_cndmask_b32 v163, 0, v163 :: v_dual_and_b32 v162, 0x7fffff, v161
	s_delay_alu instid0(VALU_DEP_1) | instskip(SKIP_2) | instid1(VALU_DEP_4)
	v_or_b32_e32 v164, 0x800000, v162
	v_cmp_eq_u32_e32 vcc_lo, 0, v17
	v_add_nc_u32_e32 v17, 0xffffff89, v17
	v_cndmask_b32_e64 v163, v163, 0x77, vcc_lo
	s_delay_alu instid0(VALU_DEP_4) | instskip(NEXT) | instid1(VALU_DEP_3)
	v_cndmask_b32_e32 v162, v164, v162, vcc_lo
	v_cndmask_b32_e64 v17, v17, 0xffffff8a, vcc_lo
	s_delay_alu instid0(VALU_DEP_3) | instskip(NEXT) | instid1(VALU_DEP_3)
	v_lshl_add_u32 v164, 0x100000, v163, -1
	v_lshrrev_b32_e32 v165, v163, v162
	v_lshlrev_b32_e64 v167, v163, 0x80000
	s_delay_alu instid0(VALU_DEP_4) | instskip(NEXT) | instid1(VALU_DEP_4)
	v_add_nc_u32_e32 v163, v163, v17
	v_and_b32_e32 v162, v164, v162
	s_delay_alu instid0(VALU_DEP_4) | instskip(NEXT) | instid1(VALU_DEP_2)
	v_bfe_u32 v166, v165, 20, 1
	v_cmp_eq_u32_e64 s8, v162, v167
	s_delay_alu instid0(VALU_DEP_2) | instskip(NEXT) | instid1(VALU_DEP_1)
	v_add_nc_u32_e32 v164, -1, v166
	v_cndmask_b32_e64 v162, 0, v164, s8
	v_lshrrev_b32_e32 v164, 23, v165
	s_mov_b32 s8, exec_lo
	s_delay_alu instid0(VALU_DEP_2) | instskip(NEXT) | instid1(VALU_DEP_2)
	v_add_nc_u32_e32 v162, v162, v165
	v_xor_b32_e32 v164, 1, v164
	s_delay_alu instid0(VALU_DEP_2) | instskip(NEXT) | instid1(VALU_DEP_1)
	v_and_b32_e32 v17, 0xfffff, v162
	v_add_nc_u32_e32 v162, v17, v165
                                        ; implicit-def: $vgpr17
	s_delay_alu instid0(VALU_DEP_3)
	v_cmpx_ne_u32_e64 v163, v164
	s_xor_b32 s8, exec_lo, s8
; %bb.391:                              ;   in Loop: Header=BB2_266 Depth=3
	s_delay_alu instid0(VALU_DEP_2) | instskip(SKIP_2) | instid1(VALU_DEP_2)
	v_cmp_lt_u32_e32 vcc_lo, 0xffffff, v162
	v_sub_nc_u32_e32 v17, v163, v164
	v_cndmask_b32_e64 v163, 0, 1, vcc_lo
	v_add_co_ci_u32_e32 v17, vcc_lo, 0, v17, vcc_lo
	s_delay_alu instid0(VALU_DEP_2)
	v_lshrrev_b32_e32 v162, v163, v162
; %bb.392:                              ;   in Loop: Header=BB2_266 Depth=3
	s_and_not1_saveexec_b32 s8, s8
; %bb.393:                              ;   in Loop: Header=BB2_266 Depth=3
	s_delay_alu instid0(VALU_DEP_1)
	v_bfe_u32 v17, v162, 23, 1
; %bb.394:                              ;   in Loop: Header=BB2_266 Depth=3
	s_or_b32 exec_lo, exec_lo, s8
	v_lshrrev_b32_e32 v162, 20, v162
	s_delay_alu instid0(VALU_DEP_2) | instskip(SKIP_2) | instid1(VALU_DEP_2)
	v_cmp_gt_i32_e32 vcc_lo, 16, v17
	v_lshrrev_b32_e32 v161, 24, v161
	v_min_i32_e32 v163, 15, v17
	v_dual_cndmask_b32 v162, 7, v162 :: v_dual_and_b32 v161, 0x80, v161
	s_delay_alu instid0(VALU_DEP_2) | instskip(NEXT) | instid1(VALU_DEP_2)
	v_lshlrev_b32_e32 v163, 3, v163
	v_or_b32_e32 v17, v17, v162
	s_delay_alu instid0(VALU_DEP_1) | instskip(SKIP_1) | instid1(VALU_DEP_1)
	v_cmp_ne_u32_e32 vcc_lo, 0, v17
	v_and_b32_e32 v164, 7, v162
	v_or3_b32 v161, v163, v161, v164
	s_delay_alu instid0(VALU_DEP_1)
	v_cndmask_b32_e32 v17, 0, v161, vcc_lo
.LBB2_395:                              ;   in Loop: Header=BB2_266 Depth=3
	s_or_b32 exec_lo, exec_lo, s20
.LBB2_396:                              ;   in Loop: Header=BB2_266 Depth=3
	s_delay_alu instid0(SALU_CYCLE_1) | instskip(SKIP_3) | instid1(VALU_DEP_1)
	s_or_b32 exec_lo, exec_lo, s9
	v_lshrrev_b16 v162, 8, v19
	s_mov_b32 s8, 0
	s_mov_b32 s20, exec_lo
                                        ; implicit-def: $sgpr9
	v_cmpx_lt_i16_e64 0x7f, v162
	s_xor_b32 s20, exec_lo, s20
	s_cbranch_execnz .LBB2_546
; %bb.397:                              ;   in Loop: Header=BB2_266 Depth=3
	s_or_saveexec_b32 s20, s20
	v_mov_b32_e32 v161, s9
	s_xor_b32 exec_lo, exec_lo, s20
	s_cbranch_execnz .LBB2_549
.LBB2_398:                              ;   in Loop: Header=BB2_266 Depth=3
	s_or_b32 exec_lo, exec_lo, s20
	s_and_saveexec_b32 s9, s8
	s_cbranch_execz .LBB2_400
.LBB2_399:                              ;   in Loop: Header=BB2_266 Depth=3
	v_and_b32_e32 v161, 0xffff, v162
	s_delay_alu instid0(VALU_DEP_1) | instskip(NEXT) | instid1(VALU_DEP_1)
	v_and_b32_e32 v163, 7, v161
	v_clz_i32_u32_e32 v164, v163
	s_delay_alu instid0(VALU_DEP_1) | instskip(NEXT) | instid1(VALU_DEP_1)
	v_min_u32_e32 v164, 32, v164
	v_subrev_nc_u32_e32 v165, 28, v164
	v_sub_nc_u32_e32 v164, 29, v164
	s_delay_alu instid0(VALU_DEP_2) | instskip(SKIP_1) | instid1(VALU_DEP_2)
	v_lshlrev_b32_e32 v165, v165, v161
	v_bfe_u32 v161, v161, 3, 4
	v_and_b32_e32 v165, 7, v165
	s_delay_alu instid0(VALU_DEP_2) | instskip(SKIP_1) | instid1(VALU_DEP_1)
	v_cmp_eq_u32_e32 vcc_lo, 0, v161
	v_dual_cndmask_b32 v161, v161, v164 :: v_dual_lshlrev_b32 v162, 24, v162
	v_dual_cndmask_b32 v163, v163, v165 :: v_dual_and_b32 v162, 0x80000000, v162
	s_delay_alu instid0(VALU_DEP_2) | instskip(NEXT) | instid1(VALU_DEP_2)
	v_lshl_add_u32 v161, v161, 23, 0x3b800000
	v_lshlrev_b32_e32 v163, 20, v163
	s_delay_alu instid0(VALU_DEP_1)
	v_or3_b32 v161, v162, v161, v163
.LBB2_400:                              ;   in Loop: Header=BB2_266 Depth=3
	s_or_b32 exec_lo, exec_lo, s9
	v_and_b32_e32 v163, 0xff, v151
	s_mov_b32 s8, 0
	s_mov_b32 s20, exec_lo
                                        ; implicit-def: $sgpr9
	s_delay_alu instid0(VALU_DEP_1)
	v_cmpx_lt_i16_e64 0x7f, v163
	s_xor_b32 s20, exec_lo, s20
	s_cbranch_execnz .LBB2_550
; %bb.401:                              ;   in Loop: Header=BB2_266 Depth=3
	s_or_saveexec_b32 s20, s20
	v_mov_b32_e32 v162, s9
	s_xor_b32 exec_lo, exec_lo, s20
	s_cbranch_execnz .LBB2_553
.LBB2_402:                              ;   in Loop: Header=BB2_266 Depth=3
	s_or_b32 exec_lo, exec_lo, s20
	s_and_saveexec_b32 s9, s8
	s_cbranch_execz .LBB2_404
.LBB2_403:                              ;   in Loop: Header=BB2_266 Depth=3
	v_and_b32_e32 v162, 7, v151
	v_bfe_u32 v165, v151, 3, 4
	s_delay_alu instid0(VALU_DEP_2) | instskip(NEXT) | instid1(VALU_DEP_2)
	v_clz_i32_u32_e32 v163, v162
	v_cmp_eq_u32_e32 vcc_lo, 0, v165
	s_delay_alu instid0(VALU_DEP_2) | instskip(NEXT) | instid1(VALU_DEP_1)
	v_min_u32_e32 v163, 32, v163
	v_subrev_nc_u32_e32 v164, 28, v163
	v_sub_nc_u32_e32 v163, 29, v163
	s_delay_alu instid0(VALU_DEP_2) | instskip(NEXT) | instid1(VALU_DEP_1)
	v_lshlrev_b32_e32 v164, v164, v151
	v_dual_cndmask_b32 v163, v165, v163 :: v_dual_and_b32 v164, 7, v164
	v_lshlrev_b32_e32 v151, 24, v151
	s_delay_alu instid0(VALU_DEP_2) | instskip(NEXT) | instid1(VALU_DEP_2)
	v_lshl_add_u32 v163, v163, 23, 0x3b800000
	v_dual_cndmask_b32 v162, v162, v164 :: v_dual_and_b32 v151, 0x80000000, v151
	s_delay_alu instid0(VALU_DEP_1) | instskip(NEXT) | instid1(VALU_DEP_1)
	v_lshlrev_b32_e32 v162, 20, v162
	v_or3_b32 v162, v151, v163, v162
.LBB2_404:                              ;   in Loop: Header=BB2_266 Depth=3
	s_or_b32 exec_lo, exec_lo, s9
	s_delay_alu instid0(VALU_DEP_1) | instskip(NEXT) | instid1(VALU_DEP_1)
	v_add_f32_e32 v161, v161, v162
	v_and_b32_e32 v151, 0x7f800000, v161
	s_delay_alu instid0(VALU_DEP_1)
	v_cmp_ne_u32_e32 vcc_lo, 0x7f800000, v151
	v_mov_b32_e32 v151, 0x80
	s_and_saveexec_b32 s9, vcc_lo
	s_cbranch_execz .LBB2_412
; %bb.405:                              ;   in Loop: Header=BB2_266 Depth=3
	v_mov_b32_e32 v151, 0
	s_mov_b32 s20, exec_lo
	v_cmpx_ne_u32_e32 0, v161
	s_cbranch_execz .LBB2_411
; %bb.406:                              ;   in Loop: Header=BB2_266 Depth=3
	v_bfe_u32 v151, v161, 23, 8
	s_delay_alu instid0(VALU_DEP_1) | instskip(SKIP_1) | instid1(VALU_DEP_2)
	v_sub_nc_u32_e32 v163, 0x78, v151
	v_cmp_gt_u32_e32 vcc_lo, 0x79, v151
	v_dual_cndmask_b32 v163, 0, v163 :: v_dual_and_b32 v162, 0x7fffff, v161
	s_delay_alu instid0(VALU_DEP_1) | instskip(SKIP_2) | instid1(VALU_DEP_4)
	v_or_b32_e32 v164, 0x800000, v162
	v_cmp_eq_u32_e32 vcc_lo, 0, v151
	v_add_nc_u32_e32 v151, 0xffffff89, v151
	v_cndmask_b32_e64 v163, v163, 0x77, vcc_lo
	s_delay_alu instid0(VALU_DEP_4) | instskip(NEXT) | instid1(VALU_DEP_3)
	v_cndmask_b32_e32 v162, v164, v162, vcc_lo
	v_cndmask_b32_e64 v151, v151, 0xffffff8a, vcc_lo
	s_delay_alu instid0(VALU_DEP_3) | instskip(NEXT) | instid1(VALU_DEP_3)
	v_lshl_add_u32 v164, 0x100000, v163, -1
	v_lshrrev_b32_e32 v165, v163, v162
	v_lshlrev_b32_e64 v167, v163, 0x80000
	s_delay_alu instid0(VALU_DEP_4) | instskip(NEXT) | instid1(VALU_DEP_4)
	v_add_nc_u32_e32 v163, v163, v151
	v_and_b32_e32 v162, v164, v162
	s_delay_alu instid0(VALU_DEP_4) | instskip(NEXT) | instid1(VALU_DEP_2)
	v_bfe_u32 v166, v165, 20, 1
	v_cmp_eq_u32_e64 s8, v162, v167
	s_delay_alu instid0(VALU_DEP_2) | instskip(NEXT) | instid1(VALU_DEP_1)
	v_add_nc_u32_e32 v164, -1, v166
	v_cndmask_b32_e64 v162, 0, v164, s8
	v_lshrrev_b32_e32 v164, 23, v165
	s_mov_b32 s8, exec_lo
	s_delay_alu instid0(VALU_DEP_2) | instskip(NEXT) | instid1(VALU_DEP_2)
	v_add_nc_u32_e32 v162, v162, v165
	v_xor_b32_e32 v164, 1, v164
	s_delay_alu instid0(VALU_DEP_2) | instskip(NEXT) | instid1(VALU_DEP_1)
	v_and_b32_e32 v151, 0xfffff, v162
	v_add_nc_u32_e32 v162, v151, v165
                                        ; implicit-def: $vgpr151
	s_delay_alu instid0(VALU_DEP_3)
	v_cmpx_ne_u32_e64 v163, v164
	s_xor_b32 s8, exec_lo, s8
; %bb.407:                              ;   in Loop: Header=BB2_266 Depth=3
	s_delay_alu instid0(VALU_DEP_2) | instskip(SKIP_2) | instid1(VALU_DEP_2)
	v_cmp_lt_u32_e32 vcc_lo, 0xffffff, v162
	v_sub_nc_u32_e32 v151, v163, v164
	v_cndmask_b32_e64 v163, 0, 1, vcc_lo
	v_add_co_ci_u32_e32 v151, vcc_lo, 0, v151, vcc_lo
	s_delay_alu instid0(VALU_DEP_2)
	v_lshrrev_b32_e32 v162, v163, v162
; %bb.408:                              ;   in Loop: Header=BB2_266 Depth=3
	s_and_not1_saveexec_b32 s8, s8
; %bb.409:                              ;   in Loop: Header=BB2_266 Depth=3
	s_delay_alu instid0(VALU_DEP_1)
	v_bfe_u32 v151, v162, 23, 1
; %bb.410:                              ;   in Loop: Header=BB2_266 Depth=3
	s_or_b32 exec_lo, exec_lo, s8
	v_lshrrev_b32_e32 v162, 20, v162
	s_delay_alu instid0(VALU_DEP_2) | instskip(SKIP_2) | instid1(VALU_DEP_2)
	v_cmp_gt_i32_e32 vcc_lo, 16, v151
	v_lshrrev_b32_e32 v161, 24, v161
	v_min_i32_e32 v163, 15, v151
	v_dual_cndmask_b32 v162, 7, v162 :: v_dual_and_b32 v161, 0x80, v161
	s_delay_alu instid0(VALU_DEP_2) | instskip(NEXT) | instid1(VALU_DEP_2)
	v_lshlrev_b32_e32 v163, 3, v163
	v_or_b32_e32 v151, v151, v162
	s_delay_alu instid0(VALU_DEP_1) | instskip(SKIP_1) | instid1(VALU_DEP_1)
	v_cmp_ne_u32_e32 vcc_lo, 0, v151
	v_and_b32_e32 v164, 7, v162
	v_or3_b32 v161, v163, v161, v164
	s_delay_alu instid0(VALU_DEP_1)
	v_cndmask_b32_e32 v151, 0, v161, vcc_lo
.LBB2_411:                              ;   in Loop: Header=BB2_266 Depth=3
	s_or_b32 exec_lo, exec_lo, s20
.LBB2_412:                              ;   in Loop: Header=BB2_266 Depth=3
	s_delay_alu instid0(SALU_CYCLE_1) | instskip(SKIP_3) | instid1(VALU_DEP_1)
	s_or_b32 exec_lo, exec_lo, s9
	v_lshrrev_b32_e32 v162, 16, v19
	s_mov_b32 s8, 0
	s_mov_b32 s20, exec_lo
                                        ; implicit-def: $sgpr9
	v_and_b32_e32 v163, 0xff, v162
	s_delay_alu instid0(VALU_DEP_1)
	v_cmpx_lt_i16_e64 0x7f, v163
	s_xor_b32 s20, exec_lo, s20
	s_cbranch_execnz .LBB2_554
; %bb.413:                              ;   in Loop: Header=BB2_266 Depth=3
	s_or_saveexec_b32 s20, s20
	v_mov_b32_e32 v161, s9
	s_xor_b32 exec_lo, exec_lo, s20
	s_cbranch_execnz .LBB2_557
.LBB2_414:                              ;   in Loop: Header=BB2_266 Depth=3
	s_or_b32 exec_lo, exec_lo, s20
	s_and_saveexec_b32 s9, s8
	s_cbranch_execz .LBB2_416
.LBB2_415:                              ;   in Loop: Header=BB2_266 Depth=3
	v_bfe_u32 v161, v19, 16, 3
	v_lshlrev_b32_e32 v165, 8, v19
	s_delay_alu instid0(VALU_DEP_2) | instskip(NEXT) | instid1(VALU_DEP_1)
	v_clz_i32_u32_e32 v163, v161
	v_min_u32_e32 v163, 32, v163
	s_delay_alu instid0(VALU_DEP_1) | instskip(SKIP_1) | instid1(VALU_DEP_2)
	v_subrev_nc_u32_e32 v164, 28, v163
	v_sub_nc_u32_e32 v163, 29, v163
	v_lshlrev_b32_e32 v162, v164, v162
	v_bfe_u32 v164, v19, 19, 4
	s_delay_alu instid0(VALU_DEP_1) | instskip(NEXT) | instid1(VALU_DEP_3)
	v_cmp_eq_u32_e32 vcc_lo, 0, v164
	v_dual_cndmask_b32 v163, v164, v163 :: v_dual_and_b32 v162, 7, v162
	s_delay_alu instid0(VALU_DEP_1) | instskip(NEXT) | instid1(VALU_DEP_2)
	v_dual_cndmask_b32 v161, v161, v162 :: v_dual_and_b32 v162, 0x80000000, v165
	v_lshl_add_u32 v163, v163, 23, 0x3b800000
	s_delay_alu instid0(VALU_DEP_2) | instskip(NEXT) | instid1(VALU_DEP_1)
	v_lshlrev_b32_e32 v161, 20, v161
	v_or3_b32 v161, v162, v163, v161
.LBB2_416:                              ;   in Loop: Header=BB2_266 Depth=3
	s_or_b32 exec_lo, exec_lo, s9
	v_and_b32_e32 v163, 0xff, v97
	s_mov_b32 s8, 0
	s_mov_b32 s20, exec_lo
                                        ; implicit-def: $sgpr9
	s_delay_alu instid0(VALU_DEP_1)
	v_cmpx_lt_i16_e64 0x7f, v163
	s_xor_b32 s20, exec_lo, s20
	s_cbranch_execnz .LBB2_558
; %bb.417:                              ;   in Loop: Header=BB2_266 Depth=3
	s_or_saveexec_b32 s20, s20
	v_mov_b32_e32 v162, s9
	s_xor_b32 exec_lo, exec_lo, s20
	s_cbranch_execnz .LBB2_561
.LBB2_418:                              ;   in Loop: Header=BB2_266 Depth=3
	s_or_b32 exec_lo, exec_lo, s20
	s_and_saveexec_b32 s9, s8
	s_cbranch_execz .LBB2_420
.LBB2_419:                              ;   in Loop: Header=BB2_266 Depth=3
	v_bfe_u32 v165, v97, 3, 4
	s_delay_alu instid0(VALU_DEP_1) | instskip(SKIP_1) | instid1(VALU_DEP_1)
	v_cmp_eq_u32_e32 vcc_lo, 0, v165
	v_and_b32_e32 v162, 7, v97
	v_clz_i32_u32_e32 v163, v162
	s_delay_alu instid0(VALU_DEP_1) | instskip(NEXT) | instid1(VALU_DEP_1)
	v_min_u32_e32 v163, 32, v163
	v_subrev_nc_u32_e32 v164, 28, v163
	v_sub_nc_u32_e32 v163, 29, v163
	s_delay_alu instid0(VALU_DEP_1) | instskip(NEXT) | instid1(VALU_DEP_1)
	v_dual_cndmask_b32 v163, v165, v163 :: v_dual_lshlrev_b32 v164, v164, v97
	v_and_b32_e32 v164, 7, v164
	v_lshlrev_b32_e32 v97, 24, v97
	s_delay_alu instid0(VALU_DEP_3) | instskip(NEXT) | instid1(VALU_DEP_2)
	v_lshl_add_u32 v163, v163, 23, 0x3b800000
	v_dual_cndmask_b32 v162, v162, v164 :: v_dual_and_b32 v97, 0x80000000, v97
	s_delay_alu instid0(VALU_DEP_1) | instskip(NEXT) | instid1(VALU_DEP_1)
	v_lshlrev_b32_e32 v162, 20, v162
	v_or3_b32 v162, v97, v163, v162
.LBB2_420:                              ;   in Loop: Header=BB2_266 Depth=3
	s_or_b32 exec_lo, exec_lo, s9
	s_delay_alu instid0(VALU_DEP_1) | instskip(NEXT) | instid1(VALU_DEP_1)
	v_add_f32_e32 v161, v161, v162
	v_and_b32_e32 v97, 0x7f800000, v161
	s_delay_alu instid0(VALU_DEP_1)
	v_cmp_ne_u32_e32 vcc_lo, 0x7f800000, v97
	v_mov_b32_e32 v97, 0x80
	s_and_saveexec_b32 s9, vcc_lo
	s_cbranch_execz .LBB2_428
; %bb.421:                              ;   in Loop: Header=BB2_266 Depth=3
	v_mov_b32_e32 v97, 0
	s_mov_b32 s20, exec_lo
	v_cmpx_ne_u32_e32 0, v161
	s_cbranch_execz .LBB2_427
; %bb.422:                              ;   in Loop: Header=BB2_266 Depth=3
	v_bfe_u32 v97, v161, 23, 8
	s_delay_alu instid0(VALU_DEP_1) | instskip(SKIP_1) | instid1(VALU_DEP_2)
	v_sub_nc_u32_e32 v163, 0x78, v97
	v_cmp_gt_u32_e32 vcc_lo, 0x79, v97
	v_dual_cndmask_b32 v163, 0, v163 :: v_dual_and_b32 v162, 0x7fffff, v161
	s_delay_alu instid0(VALU_DEP_1) | instskip(SKIP_2) | instid1(VALU_DEP_4)
	v_or_b32_e32 v164, 0x800000, v162
	v_cmp_eq_u32_e32 vcc_lo, 0, v97
	v_add_nc_u32_e32 v97, 0xffffff89, v97
	v_cndmask_b32_e64 v163, v163, 0x77, vcc_lo
	s_delay_alu instid0(VALU_DEP_4) | instskip(NEXT) | instid1(VALU_DEP_3)
	v_cndmask_b32_e32 v162, v164, v162, vcc_lo
	v_cndmask_b32_e64 v97, v97, 0xffffff8a, vcc_lo
	s_delay_alu instid0(VALU_DEP_3) | instskip(NEXT) | instid1(VALU_DEP_3)
	v_lshl_add_u32 v164, 0x100000, v163, -1
	v_lshrrev_b32_e32 v165, v163, v162
	v_lshlrev_b32_e64 v167, v163, 0x80000
	s_delay_alu instid0(VALU_DEP_4) | instskip(NEXT) | instid1(VALU_DEP_4)
	v_add_nc_u32_e32 v163, v163, v97
	v_and_b32_e32 v162, v164, v162
	s_delay_alu instid0(VALU_DEP_4) | instskip(NEXT) | instid1(VALU_DEP_2)
	v_bfe_u32 v166, v165, 20, 1
	v_cmp_eq_u32_e64 s8, v162, v167
	s_delay_alu instid0(VALU_DEP_2) | instskip(NEXT) | instid1(VALU_DEP_1)
	v_add_nc_u32_e32 v164, -1, v166
	v_cndmask_b32_e64 v162, 0, v164, s8
	v_lshrrev_b32_e32 v164, 23, v165
	s_mov_b32 s8, exec_lo
	s_delay_alu instid0(VALU_DEP_2) | instskip(NEXT) | instid1(VALU_DEP_2)
	v_add_nc_u32_e32 v162, v162, v165
	v_xor_b32_e32 v164, 1, v164
	s_delay_alu instid0(VALU_DEP_2) | instskip(NEXT) | instid1(VALU_DEP_1)
	v_and_b32_e32 v97, 0xfffff, v162
	v_add_nc_u32_e32 v162, v97, v165
                                        ; implicit-def: $vgpr97
	s_delay_alu instid0(VALU_DEP_3)
	v_cmpx_ne_u32_e64 v163, v164
	s_xor_b32 s8, exec_lo, s8
; %bb.423:                              ;   in Loop: Header=BB2_266 Depth=3
	s_delay_alu instid0(VALU_DEP_2) | instskip(SKIP_2) | instid1(VALU_DEP_2)
	v_cmp_lt_u32_e32 vcc_lo, 0xffffff, v162
	v_sub_nc_u32_e32 v97, v163, v164
	v_cndmask_b32_e64 v163, 0, 1, vcc_lo
	v_add_co_ci_u32_e32 v97, vcc_lo, 0, v97, vcc_lo
	s_delay_alu instid0(VALU_DEP_2)
	v_lshrrev_b32_e32 v162, v163, v162
; %bb.424:                              ;   in Loop: Header=BB2_266 Depth=3
	s_and_not1_saveexec_b32 s8, s8
; %bb.425:                              ;   in Loop: Header=BB2_266 Depth=3
	s_delay_alu instid0(VALU_DEP_1)
	v_bfe_u32 v97, v162, 23, 1
; %bb.426:                              ;   in Loop: Header=BB2_266 Depth=3
	s_or_b32 exec_lo, exec_lo, s8
	v_lshrrev_b32_e32 v162, 20, v162
	s_delay_alu instid0(VALU_DEP_2) | instskip(SKIP_2) | instid1(VALU_DEP_2)
	v_cmp_gt_i32_e32 vcc_lo, 16, v97
	v_lshrrev_b32_e32 v161, 24, v161
	v_min_i32_e32 v163, 15, v97
	v_dual_cndmask_b32 v162, 7, v162 :: v_dual_and_b32 v161, 0x80, v161
	s_delay_alu instid0(VALU_DEP_2) | instskip(NEXT) | instid1(VALU_DEP_2)
	v_lshlrev_b32_e32 v163, 3, v163
	v_or_b32_e32 v97, v97, v162
	s_delay_alu instid0(VALU_DEP_1) | instskip(SKIP_1) | instid1(VALU_DEP_1)
	v_cmp_ne_u32_e32 vcc_lo, 0, v97
	v_and_b32_e32 v164, 7, v162
	v_or3_b32 v161, v163, v161, v164
	s_delay_alu instid0(VALU_DEP_1)
	v_cndmask_b32_e32 v97, 0, v161, vcc_lo
.LBB2_427:                              ;   in Loop: Header=BB2_266 Depth=3
	s_or_b32 exec_lo, exec_lo, s20
.LBB2_428:                              ;   in Loop: Header=BB2_266 Depth=3
	s_delay_alu instid0(SALU_CYCLE_1) | instskip(SKIP_3) | instid1(VALU_DEP_1)
	s_or_b32 exec_lo, exec_lo, s9
	v_lshrrev_b32_e32 v162, 24, v19
	s_mov_b32 s8, 0
	s_mov_b32 s20, exec_lo
                                        ; implicit-def: $sgpr9
	v_cmpx_lt_i16_e64 0x7f, v162
	s_xor_b32 s20, exec_lo, s20
	s_cbranch_execnz .LBB2_562
; %bb.429:                              ;   in Loop: Header=BB2_266 Depth=3
	s_or_saveexec_b32 s20, s20
	v_mov_b32_e32 v161, s9
	s_xor_b32 exec_lo, exec_lo, s20
	s_cbranch_execnz .LBB2_565
.LBB2_430:                              ;   in Loop: Header=BB2_266 Depth=3
	s_or_b32 exec_lo, exec_lo, s20
	s_and_saveexec_b32 s9, s8
	s_cbranch_execz .LBB2_432
.LBB2_431:                              ;   in Loop: Header=BB2_266 Depth=3
	v_bfe_u32 v161, v19, 24, 3
	s_delay_alu instid0(VALU_DEP_1) | instskip(NEXT) | instid1(VALU_DEP_1)
	v_clz_i32_u32_e32 v163, v161
	v_min_u32_e32 v163, 32, v163
	s_delay_alu instid0(VALU_DEP_1) | instskip(SKIP_1) | instid1(VALU_DEP_2)
	v_subrev_nc_u32_e32 v164, 28, v163
	v_sub_nc_u32_e32 v163, 29, v163
	v_lshlrev_b32_e32 v162, v164, v162
	v_bfe_u32 v164, v19, 27, 4
	v_and_b32_e32 v19, 0x80000000, v19
	s_delay_alu instid0(VALU_DEP_2) | instskip(NEXT) | instid1(VALU_DEP_4)
	v_cmp_eq_u32_e32 vcc_lo, 0, v164
	v_dual_cndmask_b32 v163, v164, v163 :: v_dual_and_b32 v162, 7, v162
	s_delay_alu instid0(VALU_DEP_1) | instskip(NEXT) | instid1(VALU_DEP_2)
	v_cndmask_b32_e32 v161, v161, v162, vcc_lo
	v_lshl_add_u32 v162, v163, 23, 0x3b800000
	s_delay_alu instid0(VALU_DEP_2) | instskip(NEXT) | instid1(VALU_DEP_1)
	v_lshlrev_b32_e32 v161, 20, v161
	v_or3_b32 v161, v19, v162, v161
.LBB2_432:                              ;   in Loop: Header=BB2_266 Depth=3
	s_or_b32 exec_lo, exec_lo, s9
	v_and_b32_e32 v19, 0xff, v96
	s_mov_b32 s8, 0
	s_mov_b32 s20, exec_lo
                                        ; implicit-def: $sgpr9
	s_delay_alu instid0(VALU_DEP_1)
	v_cmpx_lt_i16_e32 0x7f, v19
	s_xor_b32 s20, exec_lo, s20
	s_cbranch_execnz .LBB2_566
; %bb.433:                              ;   in Loop: Header=BB2_266 Depth=3
	s_or_saveexec_b32 s20, s20
	v_mov_b32_e32 v162, s9
	s_xor_b32 exec_lo, exec_lo, s20
	s_cbranch_execnz .LBB2_569
.LBB2_434:                              ;   in Loop: Header=BB2_266 Depth=3
	s_or_b32 exec_lo, exec_lo, s20
	s_and_saveexec_b32 s9, s8
	s_cbranch_execz .LBB2_436
.LBB2_435:                              ;   in Loop: Header=BB2_266 Depth=3
	v_lshlrev_b32_e32 v96, 8, v96
	s_delay_alu instid0(VALU_DEP_1) | instskip(SKIP_1) | instid1(VALU_DEP_2)
	v_and_b32_e32 v162, 0xff00, v96
	v_bfe_u32 v96, v96, 11, 4
	v_bfe_u32 v163, v162, 8, 3
	s_delay_alu instid0(VALU_DEP_2) | instskip(SKIP_1) | instid1(VALU_DEP_3)
	v_cmp_eq_u32_e32 vcc_lo, 0, v96
	v_lshlrev_b32_e32 v162, 16, v162
	v_clz_i32_u32_e32 v164, v163
	s_delay_alu instid0(VALU_DEP_2) | instskip(NEXT) | instid1(VALU_DEP_2)
	v_and_b32_e32 v162, 0x80000000, v162
	v_min_u32_e32 v164, 32, v164
	s_delay_alu instid0(VALU_DEP_1) | instskip(SKIP_1) | instid1(VALU_DEP_1)
	v_subrev_nc_u32_e32 v165, 28, v164
	v_sub_nc_u32_e32 v164, 29, v164
	v_dual_cndmask_b32 v96, v96, v164 :: v_dual_lshlrev_b32 v19, v165, v19
	s_delay_alu instid0(VALU_DEP_1) | instskip(NEXT) | instid1(VALU_DEP_2)
	v_and_b32_e32 v19, 7, v19
	v_lshl_add_u32 v96, v96, 23, 0x3b800000
	s_delay_alu instid0(VALU_DEP_2) | instskip(NEXT) | instid1(VALU_DEP_1)
	v_cndmask_b32_e32 v19, v163, v19, vcc_lo
	v_lshlrev_b32_e32 v19, 20, v19
	s_delay_alu instid0(VALU_DEP_1)
	v_or3_b32 v162, v162, v96, v19
.LBB2_436:                              ;   in Loop: Header=BB2_266 Depth=3
	s_or_b32 exec_lo, exec_lo, s9
	s_delay_alu instid0(VALU_DEP_1) | instskip(NEXT) | instid1(VALU_DEP_1)
	v_add_f32_e32 v96, v161, v162
	v_and_b32_e32 v19, 0x7f800000, v96
	s_delay_alu instid0(VALU_DEP_1)
	v_cmp_ne_u32_e32 vcc_lo, 0x7f800000, v19
	v_mov_b32_e32 v19, 0x80
	s_and_saveexec_b32 s9, vcc_lo
	s_cbranch_execz .LBB2_444
; %bb.437:                              ;   in Loop: Header=BB2_266 Depth=3
	v_mov_b32_e32 v19, 0
	s_mov_b32 s20, exec_lo
	v_cmpx_ne_u32_e32 0, v96
	s_cbranch_execz .LBB2_443
; %bb.438:                              ;   in Loop: Header=BB2_266 Depth=3
	v_bfe_u32 v19, v96, 23, 8
	s_delay_alu instid0(VALU_DEP_1) | instskip(SKIP_1) | instid1(VALU_DEP_2)
	v_sub_nc_u32_e32 v162, 0x78, v19
	v_cmp_gt_u32_e32 vcc_lo, 0x79, v19
	v_dual_cndmask_b32 v162, 0, v162 :: v_dual_and_b32 v161, 0x7fffff, v96
	s_delay_alu instid0(VALU_DEP_1) | instskip(SKIP_2) | instid1(VALU_DEP_4)
	v_or_b32_e32 v163, 0x800000, v161
	v_cmp_eq_u32_e32 vcc_lo, 0, v19
	v_add_nc_u32_e32 v19, 0xffffff89, v19
	v_cndmask_b32_e64 v162, v162, 0x77, vcc_lo
	s_delay_alu instid0(VALU_DEP_2) | instskip(SKIP_1) | instid1(VALU_DEP_3)
	v_cndmask_b32_e64 v19, v19, 0xffffff8a, vcc_lo
	v_cndmask_b32_e32 v161, v163, v161, vcc_lo
	v_lshl_add_u32 v163, 0x100000, v162, -1
	v_lshlrev_b32_e64 v166, v162, 0x80000
	s_delay_alu instid0(VALU_DEP_3) | instskip(SKIP_1) | instid1(VALU_DEP_4)
	v_lshrrev_b32_e32 v164, v162, v161
	v_add_nc_u32_e32 v162, v162, v19
	v_and_b32_e32 v161, v163, v161
	s_delay_alu instid0(VALU_DEP_3) | instskip(NEXT) | instid1(VALU_DEP_2)
	v_bfe_u32 v165, v164, 20, 1
	v_cmp_eq_u32_e64 s8, v161, v166
	s_delay_alu instid0(VALU_DEP_2) | instskip(NEXT) | instid1(VALU_DEP_1)
	v_add_nc_u32_e32 v163, -1, v165
	v_cndmask_b32_e64 v161, 0, v163, s8
	v_lshrrev_b32_e32 v163, 23, v164
	s_mov_b32 s8, exec_lo
	s_delay_alu instid0(VALU_DEP_2) | instskip(NEXT) | instid1(VALU_DEP_2)
	v_add_nc_u32_e32 v161, v161, v164
	v_xor_b32_e32 v163, 1, v163
	s_delay_alu instid0(VALU_DEP_2) | instskip(NEXT) | instid1(VALU_DEP_1)
	v_and_b32_e32 v19, 0xfffff, v161
	v_add_nc_u32_e32 v161, v19, v164
                                        ; implicit-def: $vgpr19
	s_delay_alu instid0(VALU_DEP_3)
	v_cmpx_ne_u32_e64 v162, v163
	s_xor_b32 s8, exec_lo, s8
; %bb.439:                              ;   in Loop: Header=BB2_266 Depth=3
	s_delay_alu instid0(VALU_DEP_2) | instskip(SKIP_2) | instid1(VALU_DEP_2)
	v_cmp_lt_u32_e32 vcc_lo, 0xffffff, v161
	v_sub_nc_u32_e32 v19, v162, v163
	v_cndmask_b32_e64 v162, 0, 1, vcc_lo
	v_add_co_ci_u32_e32 v19, vcc_lo, 0, v19, vcc_lo
	s_delay_alu instid0(VALU_DEP_2)
	v_lshrrev_b32_e32 v161, v162, v161
; %bb.440:                              ;   in Loop: Header=BB2_266 Depth=3
	s_and_not1_saveexec_b32 s8, s8
; %bb.441:                              ;   in Loop: Header=BB2_266 Depth=3
	s_delay_alu instid0(VALU_DEP_1)
	v_bfe_u32 v19, v161, 23, 1
; %bb.442:                              ;   in Loop: Header=BB2_266 Depth=3
	s_or_b32 exec_lo, exec_lo, s8
	v_lshrrev_b32_e32 v161, 20, v161
	s_delay_alu instid0(VALU_DEP_2) | instskip(SKIP_2) | instid1(VALU_DEP_2)
	v_cmp_gt_i32_e32 vcc_lo, 16, v19
	v_lshrrev_b32_e32 v96, 24, v96
	v_min_i32_e32 v162, 15, v19
	v_dual_cndmask_b32 v161, 7, v161 :: v_dual_and_b32 v96, 0x80, v96
	s_delay_alu instid0(VALU_DEP_1) | instskip(SKIP_1) | instid1(VALU_DEP_2)
	v_or_b32_e32 v19, v19, v161
	v_and_b32_e32 v163, 7, v161
	v_cmp_ne_u32_e32 vcc_lo, 0, v19
	v_lshlrev_b32_e32 v162, 3, v162
	s_delay_alu instid0(VALU_DEP_1) | instskip(NEXT) | instid1(VALU_DEP_1)
	v_or3_b32 v96, v162, v96, v163
	v_cndmask_b32_e32 v19, 0, v96, vcc_lo
.LBB2_443:                              ;   in Loop: Header=BB2_266 Depth=3
	s_or_b32 exec_lo, exec_lo, s20
.LBB2_444:                              ;   in Loop: Header=BB2_266 Depth=3
	s_delay_alu instid0(SALU_CYCLE_1) | instskip(SKIP_3) | instid1(VALU_DEP_1)
	s_or_b32 exec_lo, exec_lo, s9
	v_and_b32_e32 v96, 0xff, v21
	s_mov_b32 s8, 0
	s_mov_b32 s20, exec_lo
                                        ; implicit-def: $sgpr9
	v_cmpx_lt_i16_e32 0x7f, v96
	s_xor_b32 s20, exec_lo, s20
	s_cbranch_execnz .LBB2_570
; %bb.445:                              ;   in Loop: Header=BB2_266 Depth=3
	s_or_saveexec_b32 s20, s20
	v_mov_b32_e32 v162, s9
	s_xor_b32 exec_lo, exec_lo, s20
	s_cbranch_execnz .LBB2_573
.LBB2_446:                              ;   in Loop: Header=BB2_266 Depth=3
	s_or_b32 exec_lo, exec_lo, s20
	s_and_saveexec_b32 s9, s8
	s_cbranch_execz .LBB2_448
.LBB2_447:                              ;   in Loop: Header=BB2_266 Depth=3
	v_and_b32_e32 v96, 7, v21
	v_bfe_u32 v163, v21, 3, 4
	v_lshlrev_b32_e32 v164, 24, v21
	s_delay_alu instid0(VALU_DEP_3) | instskip(NEXT) | instid1(VALU_DEP_3)
	v_clz_i32_u32_e32 v161, v96
	v_cmp_eq_u32_e32 vcc_lo, 0, v163
	s_delay_alu instid0(VALU_DEP_2) | instskip(NEXT) | instid1(VALU_DEP_1)
	v_min_u32_e32 v161, 32, v161
	v_subrev_nc_u32_e32 v162, 28, v161
	v_sub_nc_u32_e32 v161, 29, v161
	s_delay_alu instid0(VALU_DEP_2) | instskip(NEXT) | instid1(VALU_DEP_1)
	v_lshlrev_b32_e32 v162, v162, v21
	v_dual_cndmask_b32 v161, v163, v161 :: v_dual_and_b32 v162, 7, v162
	s_delay_alu instid0(VALU_DEP_1) | instskip(NEXT) | instid1(VALU_DEP_2)
	v_lshl_add_u32 v161, v161, 23, 0x3b800000
	v_cndmask_b32_e32 v96, v96, v162, vcc_lo
	v_and_b32_e32 v162, 0x80000000, v164
	s_delay_alu instid0(VALU_DEP_2) | instskip(NEXT) | instid1(VALU_DEP_1)
	v_lshlrev_b32_e32 v96, 20, v96
	v_or3_b32 v162, v162, v161, v96
.LBB2_448:                              ;   in Loop: Header=BB2_266 Depth=3
	s_or_b32 exec_lo, exec_lo, s9
	v_or_b32_e32 v96, v160, v22
	v_mov_b32_e32 v161, v21
	s_mov_b32 s8, 0
	s_mov_b32 s20, exec_lo
                                        ; implicit-def: $sgpr9
	s_delay_alu instid0(VALU_DEP_2) | instskip(NEXT) | instid1(VALU_DEP_1)
	v_and_b32_e32 v160, 0xff, v96
	v_cmpx_lt_i16_e64 0x7f, v160
	s_xor_b32 s20, exec_lo, s20
	s_cbranch_execnz .LBB2_574
; %bb.449:                              ;   in Loop: Header=BB2_266 Depth=3
	s_or_saveexec_b32 s20, s20
	v_mov_b32_e32 v22, s9
	s_xor_b32 exec_lo, exec_lo, s20
	s_cbranch_execnz .LBB2_577
.LBB2_450:                              ;   in Loop: Header=BB2_266 Depth=3
	s_or_b32 exec_lo, exec_lo, s20
	s_and_saveexec_b32 s9, s8
	s_cbranch_execz .LBB2_452
.LBB2_451:                              ;   in Loop: Header=BB2_266 Depth=3
	v_and_b32_e32 v22, 7, v96
	v_bfe_u32 v164, v96, 3, 4
	s_delay_alu instid0(VALU_DEP_2) | instskip(NEXT) | instid1(VALU_DEP_2)
	v_clz_i32_u32_e32 v160, v22
	v_cmp_eq_u32_e32 vcc_lo, 0, v164
	s_delay_alu instid0(VALU_DEP_2) | instskip(NEXT) | instid1(VALU_DEP_1)
	v_min_u32_e32 v160, 32, v160
	v_subrev_nc_u32_e32 v163, 28, v160
	v_sub_nc_u32_e32 v160, 29, v160
	s_delay_alu instid0(VALU_DEP_2) | instskip(NEXT) | instid1(VALU_DEP_1)
	v_lshlrev_b32_e32 v163, v163, v96
	v_dual_cndmask_b32 v160, v164, v160 :: v_dual_and_b32 v163, 7, v163
	v_lshlrev_b32_e32 v165, 24, v96
	s_delay_alu instid0(VALU_DEP_2) | instskip(NEXT) | instid1(VALU_DEP_2)
	v_lshl_add_u32 v160, v160, 23, 0x3b800000
	v_dual_cndmask_b32 v22, v22, v163 :: v_dual_and_b32 v163, 0x80000000, v165
	s_delay_alu instid0(VALU_DEP_1) | instskip(NEXT) | instid1(VALU_DEP_1)
	v_lshlrev_b32_e32 v22, 20, v22
	v_or3_b32 v22, v163, v160, v22
.LBB2_452:                              ;   in Loop: Header=BB2_266 Depth=3
	s_or_b32 exec_lo, exec_lo, s9
	s_delay_alu instid0(VALU_DEP_1) | instskip(NEXT) | instid1(VALU_DEP_1)
	v_add_f32_e32 v160, v162, v22
	v_and_b32_e32 v22, 0x7f800000, v160
	s_delay_alu instid0(VALU_DEP_1)
	v_cmp_ne_u32_e32 vcc_lo, 0x7f800000, v22
	v_mov_b32_e32 v22, 0x80
	s_and_saveexec_b32 s9, vcc_lo
	s_cbranch_execz .LBB2_460
; %bb.453:                              ;   in Loop: Header=BB2_266 Depth=3
	v_mov_b32_e32 v22, 0
	s_mov_b32 s20, exec_lo
	v_cmpx_ne_u32_e32 0, v160
	s_cbranch_execz .LBB2_459
; %bb.454:                              ;   in Loop: Header=BB2_266 Depth=3
	v_bfe_u32 v22, v160, 23, 8
	s_delay_alu instid0(VALU_DEP_1) | instskip(SKIP_1) | instid1(VALU_DEP_2)
	v_sub_nc_u32_e32 v163, 0x78, v22
	v_cmp_gt_u32_e32 vcc_lo, 0x79, v22
	v_dual_cndmask_b32 v163, 0, v163 :: v_dual_and_b32 v162, 0x7fffff, v160
	s_delay_alu instid0(VALU_DEP_1) | instskip(SKIP_2) | instid1(VALU_DEP_4)
	v_or_b32_e32 v164, 0x800000, v162
	v_cmp_eq_u32_e32 vcc_lo, 0, v22
	v_add_nc_u32_e32 v22, 0xffffff89, v22
	v_cndmask_b32_e64 v163, v163, 0x77, vcc_lo
	s_delay_alu instid0(VALU_DEP_4) | instskip(NEXT) | instid1(VALU_DEP_3)
	v_cndmask_b32_e32 v162, v164, v162, vcc_lo
	v_cndmask_b32_e64 v22, v22, 0xffffff8a, vcc_lo
	s_delay_alu instid0(VALU_DEP_3) | instskip(NEXT) | instid1(VALU_DEP_3)
	v_lshl_add_u32 v164, 0x100000, v163, -1
	v_lshrrev_b32_e32 v165, v163, v162
	v_lshlrev_b32_e64 v167, v163, 0x80000
	s_delay_alu instid0(VALU_DEP_4) | instskip(NEXT) | instid1(VALU_DEP_4)
	v_add_nc_u32_e32 v163, v163, v22
	v_and_b32_e32 v162, v164, v162
	s_delay_alu instid0(VALU_DEP_4) | instskip(NEXT) | instid1(VALU_DEP_2)
	v_bfe_u32 v166, v165, 20, 1
	v_cmp_eq_u32_e64 s8, v162, v167
	s_delay_alu instid0(VALU_DEP_2) | instskip(NEXT) | instid1(VALU_DEP_1)
	v_add_nc_u32_e32 v164, -1, v166
	v_cndmask_b32_e64 v162, 0, v164, s8
	v_lshrrev_b32_e32 v164, 23, v165
	s_mov_b32 s8, exec_lo
	s_delay_alu instid0(VALU_DEP_2) | instskip(NEXT) | instid1(VALU_DEP_2)
	v_add_nc_u32_e32 v162, v162, v165
	v_xor_b32_e32 v164, 1, v164
	s_delay_alu instid0(VALU_DEP_2) | instskip(NEXT) | instid1(VALU_DEP_1)
	v_and_b32_e32 v22, 0xfffff, v162
	v_add_nc_u32_e32 v162, v22, v165
                                        ; implicit-def: $vgpr22
	s_delay_alu instid0(VALU_DEP_3)
	v_cmpx_ne_u32_e64 v163, v164
	s_xor_b32 s8, exec_lo, s8
; %bb.455:                              ;   in Loop: Header=BB2_266 Depth=3
	s_delay_alu instid0(VALU_DEP_2) | instskip(SKIP_2) | instid1(VALU_DEP_2)
	v_cmp_lt_u32_e32 vcc_lo, 0xffffff, v162
	v_sub_nc_u32_e32 v22, v163, v164
	v_cndmask_b32_e64 v163, 0, 1, vcc_lo
	v_add_co_ci_u32_e32 v22, vcc_lo, 0, v22, vcc_lo
	s_delay_alu instid0(VALU_DEP_2)
	v_lshrrev_b32_e32 v162, v163, v162
; %bb.456:                              ;   in Loop: Header=BB2_266 Depth=3
	s_and_not1_saveexec_b32 s8, s8
; %bb.457:                              ;   in Loop: Header=BB2_266 Depth=3
	s_delay_alu instid0(VALU_DEP_1)
	v_bfe_u32 v22, v162, 23, 1
; %bb.458:                              ;   in Loop: Header=BB2_266 Depth=3
	s_or_b32 exec_lo, exec_lo, s8
	v_lshrrev_b32_e32 v162, 20, v162
	s_delay_alu instid0(VALU_DEP_2) | instskip(SKIP_2) | instid1(VALU_DEP_4)
	v_cmp_gt_i32_e32 vcc_lo, 16, v22
	v_lshrrev_b32_e32 v160, 24, v160
	v_min_i32_e32 v163, 15, v22
	v_cndmask_b32_e32 v162, 7, v162, vcc_lo
	s_delay_alu instid0(VALU_DEP_3) | instskip(NEXT) | instid1(VALU_DEP_3)
	v_and_b32_e32 v160, 0x80, v160
	v_lshlrev_b32_e32 v163, 3, v163
	s_delay_alu instid0(VALU_DEP_3) | instskip(SKIP_1) | instid1(VALU_DEP_2)
	v_and_b32_e32 v164, 7, v162
	v_or_b32_e32 v22, v22, v162
	v_or3_b32 v160, v163, v160, v164
	s_delay_alu instid0(VALU_DEP_2) | instskip(NEXT) | instid1(VALU_DEP_2)
	v_cmp_ne_u32_e32 vcc_lo, 0, v22
	v_cndmask_b32_e32 v22, 0, v160, vcc_lo
.LBB2_459:                              ;   in Loop: Header=BB2_266 Depth=3
	s_or_b32 exec_lo, exec_lo, s20
.LBB2_460:                              ;   in Loop: Header=BB2_266 Depth=3
	s_delay_alu instid0(SALU_CYCLE_1) | instskip(SKIP_3) | instid1(VALU_DEP_1)
	s_or_b32 exec_lo, exec_lo, s9
	v_lshrrev_b16 v161, 8, v161
	s_mov_b32 s8, 0
	s_mov_b32 s20, exec_lo
                                        ; implicit-def: $sgpr9
	v_cmpx_lt_i16_e64 0x7f, v161
	s_xor_b32 s20, exec_lo, s20
	s_cbranch_execnz .LBB2_578
; %bb.461:                              ;   in Loop: Header=BB2_266 Depth=3
	s_or_saveexec_b32 s20, s20
	v_mov_b32_e32 v160, s9
	s_xor_b32 exec_lo, exec_lo, s20
	s_cbranch_execnz .LBB2_581
.LBB2_462:                              ;   in Loop: Header=BB2_266 Depth=3
	s_or_b32 exec_lo, exec_lo, s20
	s_and_saveexec_b32 s9, s8
	s_cbranch_execz .LBB2_464
.LBB2_463:                              ;   in Loop: Header=BB2_266 Depth=3
	v_and_b32_e32 v160, 0xffff, v161
	s_delay_alu instid0(VALU_DEP_1) | instskip(NEXT) | instid1(VALU_DEP_1)
	v_and_b32_e32 v162, 7, v160
	v_clz_i32_u32_e32 v163, v162
	s_delay_alu instid0(VALU_DEP_1) | instskip(NEXT) | instid1(VALU_DEP_1)
	v_min_u32_e32 v163, 32, v163
	v_subrev_nc_u32_e32 v164, 28, v163
	v_sub_nc_u32_e32 v163, 29, v163
	s_delay_alu instid0(VALU_DEP_2) | instskip(SKIP_1) | instid1(VALU_DEP_2)
	v_lshlrev_b32_e32 v164, v164, v160
	v_bfe_u32 v160, v160, 3, 4
	v_and_b32_e32 v164, 7, v164
	s_delay_alu instid0(VALU_DEP_2) | instskip(SKIP_1) | instid1(VALU_DEP_1)
	v_cmp_eq_u32_e32 vcc_lo, 0, v160
	v_dual_cndmask_b32 v160, v160, v163 :: v_dual_lshlrev_b32 v161, 24, v161
	v_dual_cndmask_b32 v162, v162, v164 :: v_dual_and_b32 v161, 0x80000000, v161
	s_delay_alu instid0(VALU_DEP_2) | instskip(NEXT) | instid1(VALU_DEP_2)
	v_lshl_add_u32 v160, v160, 23, 0x3b800000
	v_lshlrev_b32_e32 v162, 20, v162
	s_delay_alu instid0(VALU_DEP_1)
	v_or3_b32 v160, v161, v160, v162
.LBB2_464:                              ;   in Loop: Header=BB2_266 Depth=3
	s_or_b32 exec_lo, exec_lo, s9
	v_lshrrev_b16 v161, 8, v96
	s_mov_b32 s8, 0
	s_mov_b32 s20, exec_lo
                                        ; implicit-def: $sgpr9
	s_delay_alu instid0(VALU_DEP_1)
	v_cmpx_lt_i16_e64 0x7f, v161
	s_xor_b32 s20, exec_lo, s20
	s_cbranch_execnz .LBB2_582
; %bb.465:                              ;   in Loop: Header=BB2_266 Depth=3
	s_or_saveexec_b32 s20, s20
	v_mov_b32_e32 v162, s9
	s_xor_b32 exec_lo, exec_lo, s20
	s_cbranch_execnz .LBB2_585
.LBB2_466:                              ;   in Loop: Header=BB2_266 Depth=3
	s_or_b32 exec_lo, exec_lo, s20
	s_and_saveexec_b32 s9, s8
	s_cbranch_execz .LBB2_468
.LBB2_467:                              ;   in Loop: Header=BB2_266 Depth=3
	v_and_b32_e32 v162, 0xffff, v161
	v_lshlrev_b32_e32 v161, 24, v161
	s_delay_alu instid0(VALU_DEP_2) | instskip(NEXT) | instid1(VALU_DEP_2)
	v_and_b32_e32 v163, 7, v162
	v_and_b32_e32 v161, 0x80000000, v161
	s_delay_alu instid0(VALU_DEP_2) | instskip(NEXT) | instid1(VALU_DEP_1)
	v_clz_i32_u32_e32 v164, v163
	v_min_u32_e32 v164, 32, v164
	s_delay_alu instid0(VALU_DEP_1) | instskip(SKIP_1) | instid1(VALU_DEP_2)
	v_subrev_nc_u32_e32 v165, 28, v164
	v_sub_nc_u32_e32 v164, 29, v164
	v_lshlrev_b32_e32 v165, v165, v162
	v_bfe_u32 v162, v162, 3, 4
	s_delay_alu instid0(VALU_DEP_2) | instskip(NEXT) | instid1(VALU_DEP_2)
	v_and_b32_e32 v165, 7, v165
	v_cmp_eq_u32_e32 vcc_lo, 0, v162
	s_delay_alu instid0(VALU_DEP_2) | instskip(NEXT) | instid1(VALU_DEP_1)
	v_dual_cndmask_b32 v162, v162, v164 :: v_dual_cndmask_b32 v163, v163, v165
	v_lshl_add_u32 v162, v162, 23, 0x3b800000
	s_delay_alu instid0(VALU_DEP_2) | instskip(NEXT) | instid1(VALU_DEP_1)
	v_lshlrev_b32_e32 v163, 20, v163
	v_or3_b32 v162, v161, v162, v163
.LBB2_468:                              ;   in Loop: Header=BB2_266 Depth=3
	s_or_b32 exec_lo, exec_lo, s9
	s_delay_alu instid0(VALU_DEP_1) | instskip(NEXT) | instid1(VALU_DEP_1)
	v_add_f32_e32 v161, v160, v162
	v_and_b32_e32 v160, 0x7f800000, v161
	s_delay_alu instid0(VALU_DEP_1)
	v_cmp_ne_u32_e32 vcc_lo, 0x7f800000, v160
	v_mov_b32_e32 v160, 0x8000
	s_and_saveexec_b32 s9, vcc_lo
	s_cbranch_execz .LBB2_476
; %bb.469:                              ;   in Loop: Header=BB2_266 Depth=3
	v_mov_b32_e32 v160, 0
	s_mov_b32 s20, exec_lo
	v_cmpx_ne_u32_e32 0, v161
	s_cbranch_execz .LBB2_475
; %bb.470:                              ;   in Loop: Header=BB2_266 Depth=3
	v_bfe_u32 v160, v161, 23, 8
	s_delay_alu instid0(VALU_DEP_1) | instskip(SKIP_1) | instid1(VALU_DEP_2)
	v_sub_nc_u32_e32 v163, 0x78, v160
	v_cmp_gt_u32_e32 vcc_lo, 0x79, v160
	v_dual_cndmask_b32 v163, 0, v163 :: v_dual_and_b32 v162, 0x7fffff, v161
	s_delay_alu instid0(VALU_DEP_1) | instskip(SKIP_2) | instid1(VALU_DEP_4)
	v_or_b32_e32 v164, 0x800000, v162
	v_cmp_eq_u32_e32 vcc_lo, 0, v160
	v_add_nc_u32_e32 v160, 0xffffff89, v160
	v_cndmask_b32_e64 v163, v163, 0x77, vcc_lo
	s_delay_alu instid0(VALU_DEP_2) | instskip(SKIP_1) | instid1(VALU_DEP_3)
	v_cndmask_b32_e64 v160, v160, 0xffffff8a, vcc_lo
	v_cndmask_b32_e32 v162, v164, v162, vcc_lo
	v_lshl_add_u32 v164, 0x100000, v163, -1
	v_lshlrev_b32_e64 v167, v163, 0x80000
	s_delay_alu instid0(VALU_DEP_3) | instskip(SKIP_1) | instid1(VALU_DEP_4)
	v_lshrrev_b32_e32 v165, v163, v162
	v_add_nc_u32_e32 v163, v163, v160
	v_and_b32_e32 v162, v164, v162
	s_delay_alu instid0(VALU_DEP_3) | instskip(NEXT) | instid1(VALU_DEP_2)
	v_bfe_u32 v166, v165, 20, 1
	v_cmp_eq_u32_e64 s8, v162, v167
	s_delay_alu instid0(VALU_DEP_2) | instskip(NEXT) | instid1(VALU_DEP_1)
	v_add_nc_u32_e32 v164, -1, v166
	v_cndmask_b32_e64 v162, 0, v164, s8
	v_lshrrev_b32_e32 v164, 23, v165
	s_mov_b32 s8, exec_lo
	s_delay_alu instid0(VALU_DEP_2) | instskip(NEXT) | instid1(VALU_DEP_2)
	v_add_nc_u32_e32 v162, v162, v165
	v_xor_b32_e32 v164, 1, v164
	s_delay_alu instid0(VALU_DEP_2) | instskip(NEXT) | instid1(VALU_DEP_1)
	v_and_b32_e32 v160, 0xfffff, v162
	v_add_nc_u32_e32 v162, v160, v165
                                        ; implicit-def: $vgpr160
	s_delay_alu instid0(VALU_DEP_3)
	v_cmpx_ne_u32_e64 v163, v164
	s_xor_b32 s8, exec_lo, s8
; %bb.471:                              ;   in Loop: Header=BB2_266 Depth=3
	s_delay_alu instid0(VALU_DEP_2) | instskip(SKIP_2) | instid1(VALU_DEP_2)
	v_cmp_lt_u32_e32 vcc_lo, 0xffffff, v162
	v_sub_nc_u32_e32 v160, v163, v164
	v_cndmask_b32_e64 v163, 0, 1, vcc_lo
	v_add_co_ci_u32_e32 v160, vcc_lo, 0, v160, vcc_lo
	s_delay_alu instid0(VALU_DEP_2)
	v_lshrrev_b32_e32 v162, v163, v162
; %bb.472:                              ;   in Loop: Header=BB2_266 Depth=3
	s_and_not1_saveexec_b32 s8, s8
; %bb.473:                              ;   in Loop: Header=BB2_266 Depth=3
	s_delay_alu instid0(VALU_DEP_1)
	v_bfe_u32 v160, v162, 23, 1
; %bb.474:                              ;   in Loop: Header=BB2_266 Depth=3
	s_or_b32 exec_lo, exec_lo, s8
	v_lshrrev_b32_e32 v162, 20, v162
	s_delay_alu instid0(VALU_DEP_2) | instskip(SKIP_2) | instid1(VALU_DEP_2)
	v_cmp_gt_i32_e32 vcc_lo, 16, v160
	v_min_i32_e32 v163, 15, v160
	v_lshrrev_b32_e32 v161, 24, v161
	v_dual_cndmask_b32 v162, 7, v162 :: v_dual_lshlrev_b32 v163, 3, v163
	s_delay_alu instid0(VALU_DEP_2) | instskip(NEXT) | instid1(VALU_DEP_2)
	v_and_b32_e32 v161, 0x80, v161
	v_or_b32_e32 v160, v160, v162
	v_and_b32_e32 v164, 7, v162
	s_delay_alu instid0(VALU_DEP_2) | instskip(SKIP_1) | instid1(VALU_DEP_1)
	v_cmp_ne_u32_e32 vcc_lo, 0, v160
	v_and_b32_e32 v163, 0xf8, v163
	v_or3_b32 v161, v161, v163, v164
	s_delay_alu instid0(VALU_DEP_1) | instskip(NEXT) | instid1(VALU_DEP_1)
	v_lshlrev_b32_e32 v161, 8, v161
	v_cndmask_b32_e32 v160, 0, v161, vcc_lo
.LBB2_475:                              ;   in Loop: Header=BB2_266 Depth=3
	s_or_b32 exec_lo, exec_lo, s20
.LBB2_476:                              ;   in Loop: Header=BB2_266 Depth=3
	s_delay_alu instid0(SALU_CYCLE_1) | instskip(SKIP_3) | instid1(VALU_DEP_1)
	s_or_b32 exec_lo, exec_lo, s9
	v_lshrrev_b32_e32 v162, 16, v21
	s_mov_b32 s8, 0
	s_mov_b32 s20, exec_lo
                                        ; implicit-def: $sgpr9
	v_and_b32_e32 v163, 0xff, v162
	s_delay_alu instid0(VALU_DEP_1)
	v_cmpx_lt_i16_e64 0x7f, v163
	s_xor_b32 s20, exec_lo, s20
	s_cbranch_execnz .LBB2_586
; %bb.477:                              ;   in Loop: Header=BB2_266 Depth=3
	s_or_saveexec_b32 s20, s20
	v_mov_b32_e32 v161, s9
	s_xor_b32 exec_lo, exec_lo, s20
	s_cbranch_execnz .LBB2_589
.LBB2_478:                              ;   in Loop: Header=BB2_266 Depth=3
	s_or_b32 exec_lo, exec_lo, s20
	s_and_saveexec_b32 s9, s8
	s_cbranch_execz .LBB2_480
.LBB2_479:                              ;   in Loop: Header=BB2_266 Depth=3
	v_bfe_u32 v161, v21, 16, 3
	v_lshlrev_b32_e32 v165, 8, v21
	s_delay_alu instid0(VALU_DEP_2) | instskip(NEXT) | instid1(VALU_DEP_1)
	v_clz_i32_u32_e32 v163, v161
	v_min_u32_e32 v163, 32, v163
	s_delay_alu instid0(VALU_DEP_1) | instskip(SKIP_1) | instid1(VALU_DEP_2)
	v_subrev_nc_u32_e32 v164, 28, v163
	v_sub_nc_u32_e32 v163, 29, v163
	v_lshlrev_b32_e32 v162, v164, v162
	v_bfe_u32 v164, v21, 19, 4
	s_delay_alu instid0(VALU_DEP_1) | instskip(NEXT) | instid1(VALU_DEP_3)
	v_cmp_eq_u32_e32 vcc_lo, 0, v164
	v_dual_cndmask_b32 v163, v164, v163 :: v_dual_and_b32 v162, 7, v162
	s_delay_alu instid0(VALU_DEP_1) | instskip(NEXT) | instid1(VALU_DEP_2)
	v_dual_cndmask_b32 v161, v161, v162 :: v_dual_and_b32 v162, 0x80000000, v165
	v_lshl_add_u32 v163, v163, 23, 0x3b800000
	s_delay_alu instid0(VALU_DEP_2) | instskip(NEXT) | instid1(VALU_DEP_1)
	v_lshlrev_b32_e32 v161, 20, v161
	v_or3_b32 v161, v162, v163, v161
.LBB2_480:                              ;   in Loop: Header=BB2_266 Depth=3
	s_or_b32 exec_lo, exec_lo, s9
	v_or_b32_e32 v20, v83, v20
	s_mov_b32 s8, 0
	s_mov_b32 s20, exec_lo
                                        ; implicit-def: $sgpr9
	s_delay_alu instid0(VALU_DEP_1) | instskip(NEXT) | instid1(VALU_DEP_1)
	v_and_b32_e32 v83, 0xff, v20
	v_cmpx_lt_i16_e32 0x7f, v83
	s_xor_b32 s20, exec_lo, s20
	s_cbranch_execnz .LBB2_590
; %bb.481:                              ;   in Loop: Header=BB2_266 Depth=3
	s_or_saveexec_b32 s20, s20
	v_mov_b32_e32 v162, s9
	s_xor_b32 exec_lo, exec_lo, s20
	s_cbranch_execnz .LBB2_593
.LBB2_482:                              ;   in Loop: Header=BB2_266 Depth=3
	s_or_b32 exec_lo, exec_lo, s20
	v_lshl_or_b32 v83, v20, 16, v96
	s_and_saveexec_b32 s9, s8
	s_cbranch_execz .LBB2_484
.LBB2_483:                              ;   in Loop: Header=BB2_266 Depth=3
	s_delay_alu instid0(VALU_DEP_1) | instskip(SKIP_2) | instid1(VALU_DEP_3)
	v_bfe_u32 v20, v83, 16, 3
	v_lshrrev_b32_e32 v162, 16, v83
	v_lshlrev_b32_e32 v164, 8, v83
	v_clz_i32_u32_e32 v96, v20
	s_delay_alu instid0(VALU_DEP_1) | instskip(NEXT) | instid1(VALU_DEP_1)
	v_min_u32_e32 v96, 32, v96
	v_subrev_nc_u32_e32 v163, 28, v96
	v_sub_nc_u32_e32 v96, 29, v96
	s_delay_alu instid0(VALU_DEP_2) | instskip(SKIP_1) | instid1(VALU_DEP_2)
	v_lshlrev_b32_e32 v162, v163, v162
	v_bfe_u32 v163, v83, 19, 4
	v_and_b32_e32 v162, 7, v162
	s_delay_alu instid0(VALU_DEP_2) | instskip(SKIP_1) | instid1(VALU_DEP_3)
	v_cmp_eq_u32_e32 vcc_lo, 0, v163
	v_cndmask_b32_e32 v96, v163, v96, vcc_lo
	v_cndmask_b32_e32 v20, v20, v162, vcc_lo
	v_and_b32_e32 v162, 0x80000000, v164
	s_delay_alu instid0(VALU_DEP_3) | instskip(NEXT) | instid1(VALU_DEP_3)
	v_lshl_add_u32 v96, v96, 23, 0x3b800000
	v_lshlrev_b32_e32 v20, 20, v20
	s_delay_alu instid0(VALU_DEP_1)
	v_or3_b32 v162, v162, v96, v20
.LBB2_484:                              ;   in Loop: Header=BB2_266 Depth=3
	s_or_b32 exec_lo, exec_lo, s9
	s_delay_alu instid0(VALU_DEP_1) | instskip(NEXT) | instid1(VALU_DEP_1)
	v_add_f32_e32 v96, v161, v162
	v_and_b32_e32 v20, 0x7f800000, v96
	s_delay_alu instid0(VALU_DEP_1)
	v_cmp_ne_u32_e32 vcc_lo, 0x7f800000, v20
	v_mov_b32_e32 v20, 0x80
	s_and_saveexec_b32 s9, vcc_lo
	s_cbranch_execz .LBB2_492
; %bb.485:                              ;   in Loop: Header=BB2_266 Depth=3
	v_mov_b32_e32 v20, 0
	s_mov_b32 s20, exec_lo
	v_cmpx_ne_u32_e32 0, v96
	s_cbranch_execz .LBB2_491
; %bb.486:                              ;   in Loop: Header=BB2_266 Depth=3
	v_bfe_u32 v20, v96, 23, 8
	s_delay_alu instid0(VALU_DEP_1) | instskip(SKIP_1) | instid1(VALU_DEP_2)
	v_sub_nc_u32_e32 v162, 0x78, v20
	v_cmp_gt_u32_e32 vcc_lo, 0x79, v20
	v_dual_cndmask_b32 v162, 0, v162 :: v_dual_and_b32 v161, 0x7fffff, v96
	s_delay_alu instid0(VALU_DEP_1) | instskip(SKIP_2) | instid1(VALU_DEP_4)
	v_or_b32_e32 v163, 0x800000, v161
	v_cmp_eq_u32_e32 vcc_lo, 0, v20
	v_add_nc_u32_e32 v20, 0xffffff89, v20
	v_cndmask_b32_e64 v162, v162, 0x77, vcc_lo
	s_delay_alu instid0(VALU_DEP_4) | instskip(NEXT) | instid1(VALU_DEP_3)
	v_cndmask_b32_e32 v161, v163, v161, vcc_lo
	v_cndmask_b32_e64 v20, v20, 0xffffff8a, vcc_lo
	s_delay_alu instid0(VALU_DEP_3) | instskip(NEXT) | instid1(VALU_DEP_3)
	v_lshl_add_u32 v163, 0x100000, v162, -1
	v_lshrrev_b32_e32 v164, v162, v161
	v_lshlrev_b32_e64 v166, v162, 0x80000
	s_delay_alu instid0(VALU_DEP_4) | instskip(NEXT) | instid1(VALU_DEP_4)
	v_add_nc_u32_e32 v162, v162, v20
	v_and_b32_e32 v161, v163, v161
	s_delay_alu instid0(VALU_DEP_4) | instskip(NEXT) | instid1(VALU_DEP_2)
	v_bfe_u32 v165, v164, 20, 1
	v_cmp_eq_u32_e64 s8, v161, v166
	s_delay_alu instid0(VALU_DEP_2) | instskip(NEXT) | instid1(VALU_DEP_1)
	v_add_nc_u32_e32 v163, -1, v165
	v_cndmask_b32_e64 v161, 0, v163, s8
	v_lshrrev_b32_e32 v163, 23, v164
	s_mov_b32 s8, exec_lo
	s_delay_alu instid0(VALU_DEP_2) | instskip(NEXT) | instid1(VALU_DEP_2)
	v_add_nc_u32_e32 v161, v161, v164
	v_xor_b32_e32 v163, 1, v163
	s_delay_alu instid0(VALU_DEP_2) | instskip(NEXT) | instid1(VALU_DEP_1)
	v_and_b32_e32 v20, 0xfffff, v161
	v_add_nc_u32_e32 v161, v20, v164
                                        ; implicit-def: $vgpr20
	s_delay_alu instid0(VALU_DEP_3)
	v_cmpx_ne_u32_e64 v162, v163
	s_xor_b32 s8, exec_lo, s8
; %bb.487:                              ;   in Loop: Header=BB2_266 Depth=3
	s_delay_alu instid0(VALU_DEP_2) | instskip(SKIP_2) | instid1(VALU_DEP_2)
	v_cmp_lt_u32_e32 vcc_lo, 0xffffff, v161
	v_sub_nc_u32_e32 v20, v162, v163
	v_cndmask_b32_e64 v162, 0, 1, vcc_lo
	v_add_co_ci_u32_e32 v20, vcc_lo, 0, v20, vcc_lo
	s_delay_alu instid0(VALU_DEP_2)
	v_lshrrev_b32_e32 v161, v162, v161
; %bb.488:                              ;   in Loop: Header=BB2_266 Depth=3
	s_and_not1_saveexec_b32 s8, s8
; %bb.489:                              ;   in Loop: Header=BB2_266 Depth=3
	s_delay_alu instid0(VALU_DEP_1)
	v_bfe_u32 v20, v161, 23, 1
; %bb.490:                              ;   in Loop: Header=BB2_266 Depth=3
	s_or_b32 exec_lo, exec_lo, s8
	v_lshrrev_b32_e32 v161, 20, v161
	s_delay_alu instid0(VALU_DEP_2) | instskip(SKIP_2) | instid1(VALU_DEP_2)
	v_cmp_gt_i32_e32 vcc_lo, 16, v20
	v_min_i32_e32 v162, 15, v20
	v_lshrrev_b32_e32 v96, 24, v96
	v_dual_cndmask_b32 v161, 7, v161 :: v_dual_lshlrev_b32 v162, 3, v162
	s_delay_alu instid0(VALU_DEP_2) | instskip(NEXT) | instid1(VALU_DEP_2)
	v_and_b32_e32 v96, 0x80, v96
	v_or_b32_e32 v20, v20, v161
	s_delay_alu instid0(VALU_DEP_3) | instskip(NEXT) | instid1(VALU_DEP_2)
	v_and_b32_e32 v162, 0xf8, v162
	v_cmp_ne_u32_e32 vcc_lo, 0, v20
	v_and_b32_e32 v163, 7, v161
	s_delay_alu instid0(VALU_DEP_1) | instskip(NEXT) | instid1(VALU_DEP_1)
	v_or3_b32 v96, v162, v96, v163
	v_cndmask_b32_e32 v20, 0, v96, vcc_lo
.LBB2_491:                              ;   in Loop: Header=BB2_266 Depth=3
	s_or_b32 exec_lo, exec_lo, s20
.LBB2_492:                              ;   in Loop: Header=BB2_266 Depth=3
	s_delay_alu instid0(SALU_CYCLE_1) | instskip(SKIP_3) | instid1(VALU_DEP_1)
	s_or_b32 exec_lo, exec_lo, s9
	v_lshrrev_b32_e32 v161, 24, v21
	s_mov_b32 s8, 0
	s_mov_b32 s20, exec_lo
                                        ; implicit-def: $sgpr9
	v_cmpx_lt_i16_e64 0x7f, v161
	s_xor_b32 s20, exec_lo, s20
	s_cbranch_execnz .LBB2_594
; %bb.493:                              ;   in Loop: Header=BB2_266 Depth=3
	s_or_saveexec_b32 s20, s20
	v_mov_b32_e32 v96, s9
	s_xor_b32 exec_lo, exec_lo, s20
	s_cbranch_execnz .LBB2_597
.LBB2_494:                              ;   in Loop: Header=BB2_266 Depth=3
	s_or_b32 exec_lo, exec_lo, s20
	s_and_saveexec_b32 s9, s8
	s_cbranch_execz .LBB2_496
.LBB2_495:                              ;   in Loop: Header=BB2_266 Depth=3
	v_bfe_u32 v96, v21, 24, 3
	s_delay_alu instid0(VALU_DEP_1) | instskip(NEXT) | instid1(VALU_DEP_1)
	v_clz_i32_u32_e32 v162, v96
	v_min_u32_e32 v162, 32, v162
	s_delay_alu instid0(VALU_DEP_1) | instskip(SKIP_1) | instid1(VALU_DEP_2)
	v_subrev_nc_u32_e32 v163, 28, v162
	v_sub_nc_u32_e32 v162, 29, v162
	v_lshlrev_b32_e32 v161, v163, v161
	v_bfe_u32 v163, v21, 27, 4
	v_and_b32_e32 v21, 0x80000000, v21
	s_delay_alu instid0(VALU_DEP_2) | instskip(NEXT) | instid1(VALU_DEP_4)
	v_cmp_eq_u32_e32 vcc_lo, 0, v163
	v_dual_cndmask_b32 v162, v163, v162 :: v_dual_and_b32 v161, 7, v161
	s_delay_alu instid0(VALU_DEP_1) | instskip(NEXT) | instid1(VALU_DEP_2)
	v_cndmask_b32_e32 v96, v96, v161, vcc_lo
	v_lshl_add_u32 v161, v162, 23, 0x3b800000
	s_delay_alu instid0(VALU_DEP_2) | instskip(NEXT) | instid1(VALU_DEP_1)
	v_lshlrev_b32_e32 v96, 20, v96
	v_or3_b32 v96, v21, v161, v96
.LBB2_496:                              ;   in Loop: Header=BB2_266 Depth=3
	s_or_b32 exec_lo, exec_lo, s9
	v_lshrrev_b32_e32 v21, 24, v83
	s_mov_b32 s8, 0
	s_mov_b32 s20, exec_lo
                                        ; implicit-def: $sgpr9
	s_delay_alu instid0(VALU_DEP_1)
	v_cmpx_lt_i16_e32 0x7f, v21
	s_xor_b32 s20, exec_lo, s20
	s_cbranch_execnz .LBB2_598
; %bb.497:                              ;   in Loop: Header=BB2_266 Depth=3
	s_or_saveexec_b32 s20, s20
	v_mov_b32_e32 v161, s9
	s_xor_b32 exec_lo, exec_lo, s20
	s_cbranch_execnz .LBB2_601
.LBB2_498:                              ;   in Loop: Header=BB2_266 Depth=3
	s_or_b32 exec_lo, exec_lo, s20
	s_and_saveexec_b32 s9, s8
	s_cbranch_execz .LBB2_500
.LBB2_499:                              ;   in Loop: Header=BB2_266 Depth=3
	v_bfe_u32 v161, v83, 24, 3
	s_delay_alu instid0(VALU_DEP_1) | instskip(NEXT) | instid1(VALU_DEP_1)
	v_clz_i32_u32_e32 v162, v161
	v_min_u32_e32 v162, 32, v162
	s_delay_alu instid0(VALU_DEP_1) | instskip(SKIP_1) | instid1(VALU_DEP_2)
	v_subrev_nc_u32_e32 v163, 28, v162
	v_sub_nc_u32_e32 v162, 29, v162
	v_lshlrev_b32_e32 v21, v163, v21
	v_bfe_u32 v163, v83, 27, 4
	v_and_b32_e32 v83, 0x80000000, v83
	s_delay_alu instid0(VALU_DEP_2) | instskip(NEXT) | instid1(VALU_DEP_4)
	v_cmp_eq_u32_e32 vcc_lo, 0, v163
	v_dual_cndmask_b32 v162, v163, v162 :: v_dual_and_b32 v21, 7, v21
	s_delay_alu instid0(VALU_DEP_1) | instskip(NEXT) | instid1(VALU_DEP_2)
	v_cndmask_b32_e32 v21, v161, v21, vcc_lo
	v_lshl_add_u32 v161, v162, 23, 0x3b800000
	s_delay_alu instid0(VALU_DEP_2) | instskip(NEXT) | instid1(VALU_DEP_1)
	v_lshlrev_b32_e32 v21, 20, v21
	v_or3_b32 v161, v83, v161, v21
.LBB2_500:                              ;   in Loop: Header=BB2_266 Depth=3
	s_or_b32 exec_lo, exec_lo, s9
	s_delay_alu instid0(VALU_DEP_1) | instskip(NEXT) | instid1(VALU_DEP_1)
	v_add_f32_e32 v21, v96, v161
	v_and_b32_e32 v83, 0x7f800000, v21
	s_delay_alu instid0(VALU_DEP_1)
	v_cmp_ne_u32_e32 vcc_lo, 0x7f800000, v83
	v_mov_b32_e32 v83, 0x8000
	s_and_saveexec_b32 s9, vcc_lo
	s_cbranch_execz .LBB2_265
; %bb.501:                              ;   in Loop: Header=BB2_266 Depth=3
	v_mov_b32_e32 v83, 0
	s_mov_b32 s20, exec_lo
	v_cmpx_ne_u32_e32 0, v21
	s_cbranch_execz .LBB2_264
; %bb.502:                              ;   in Loop: Header=BB2_266 Depth=3
	v_bfe_u32 v83, v21, 23, 8
	v_and_b32_e32 v96, 0x7fffff, v21
	s_delay_alu instid0(VALU_DEP_2) | instskip(SKIP_1) | instid1(VALU_DEP_3)
	v_sub_nc_u32_e32 v161, 0x78, v83
	v_cmp_gt_u32_e32 vcc_lo, 0x79, v83
	v_or_b32_e32 v162, 0x800000, v96
	s_delay_alu instid0(VALU_DEP_3) | instskip(SKIP_1) | instid1(VALU_DEP_3)
	v_cndmask_b32_e32 v161, 0, v161, vcc_lo
	v_cmp_eq_u32_e32 vcc_lo, 0, v83
	v_dual_cndmask_b32 v96, v162, v96 :: v_dual_add_nc_u32 v83, 0xffffff89, v83
	s_delay_alu instid0(VALU_DEP_3) | instskip(NEXT) | instid1(VALU_DEP_2)
	v_cndmask_b32_e64 v161, v161, 0x77, vcc_lo
	v_cndmask_b32_e64 v83, v83, 0xffffff8a, vcc_lo
	s_delay_alu instid0(VALU_DEP_2) | instskip(SKIP_2) | instid1(VALU_DEP_4)
	v_lshrrev_b32_e32 v163, v161, v96
	v_lshl_add_u32 v162, 0x100000, v161, -1
	v_lshlrev_b32_e64 v165, v161, 0x80000
	v_add_nc_u32_e32 v161, v161, v83
	s_delay_alu instid0(VALU_DEP_4) | instskip(NEXT) | instid1(VALU_DEP_4)
	v_bfe_u32 v164, v163, 20, 1
	v_and_b32_e32 v96, v162, v96
	s_delay_alu instid0(VALU_DEP_2) | instskip(NEXT) | instid1(VALU_DEP_2)
	v_add_nc_u32_e32 v162, -1, v164
	v_cmp_eq_u32_e64 s8, v96, v165
	s_delay_alu instid0(VALU_DEP_1) | instskip(SKIP_2) | instid1(VALU_DEP_2)
	v_cndmask_b32_e64 v96, 0, v162, s8
	v_lshrrev_b32_e32 v162, 23, v163
	s_mov_b32 s8, exec_lo
	v_add_nc_u32_e32 v96, v96, v163
	s_delay_alu instid0(VALU_DEP_2) | instskip(NEXT) | instid1(VALU_DEP_2)
	v_xor_b32_e32 v162, 1, v162
	v_and_b32_e32 v83, 0xfffff, v96
	s_delay_alu instid0(VALU_DEP_1) | instskip(NEXT) | instid1(VALU_DEP_3)
	v_add_nc_u32_e32 v96, v83, v163
                                        ; implicit-def: $vgpr83
	v_cmpx_ne_u32_e64 v161, v162
	s_xor_b32 s8, exec_lo, s8
; %bb.503:                              ;   in Loop: Header=BB2_266 Depth=3
	s_delay_alu instid0(VALU_DEP_2) | instskip(SKIP_2) | instid1(VALU_DEP_2)
	v_cmp_lt_u32_e32 vcc_lo, 0xffffff, v96
	v_sub_nc_u32_e32 v83, v161, v162
	v_cndmask_b32_e64 v161, 0, 1, vcc_lo
	v_add_co_ci_u32_e32 v83, vcc_lo, 0, v83, vcc_lo
	s_delay_alu instid0(VALU_DEP_2)
	v_lshrrev_b32_e32 v96, v161, v96
; %bb.504:                              ;   in Loop: Header=BB2_266 Depth=3
	s_and_not1_saveexec_b32 s8, s8
	s_cbranch_execz .LBB2_263
; %bb.505:                              ;   in Loop: Header=BB2_266 Depth=3
	s_delay_alu instid0(VALU_DEP_1)
	v_bfe_u32 v83, v96, 23, 1
	s_branch .LBB2_263
.LBB2_506:                              ;   in Loop: Header=BB2_266 Depth=3
	s_mov_b32 s8, -1
	s_mov_b32 s21, exec_lo
                                        ; implicit-def: $sgpr9
	v_cmpx_eq_u16_e32 0x80, v83
; %bb.507:                              ;   in Loop: Header=BB2_266 Depth=3
	s_mov_b32 s9, 0x7f800001
	s_xor_b32 s8, exec_lo, -1
; %bb.508:                              ;   in Loop: Header=BB2_266 Depth=3
	s_or_b32 exec_lo, exec_lo, s21
	s_delay_alu instid0(SALU_CYCLE_1)
	s_and_b32 s8, s8, exec_lo
                                        ; implicit-def: $vgpr83
	s_or_saveexec_b32 s20, s20
	v_mov_b32_e32 v17, s9
	s_xor_b32 exec_lo, exec_lo, s20
	s_cbranch_execz .LBB2_286
.LBB2_509:                              ;   in Loop: Header=BB2_266 Depth=3
	v_cmp_ne_u16_e32 vcc_lo, 0, v83
	v_mov_b32_e32 v17, 0
	s_and_not1_b32 s8, s8, exec_lo
	s_and_b32 s9, vcc_lo, exec_lo
	s_delay_alu instid0(SALU_CYCLE_1)
	s_or_b32 s8, s8, s9
	s_or_b32 exec_lo, exec_lo, s20
	s_and_saveexec_b32 s9, s8
	s_cbranch_execnz .LBB2_287
	s_branch .LBB2_288
.LBB2_510:                              ;   in Loop: Header=BB2_266 Depth=3
	s_mov_b32 s8, -1
	s_mov_b32 s21, exec_lo
                                        ; implicit-def: $sgpr9
	v_cmpx_eq_u16_e32 0x80, v83
; %bb.511:                              ;   in Loop: Header=BB2_266 Depth=3
	s_mov_b32 s9, 0x7f800001
	s_xor_b32 s8, exec_lo, -1
; %bb.512:                              ;   in Loop: Header=BB2_266 Depth=3
	s_or_b32 exec_lo, exec_lo, s21
	s_delay_alu instid0(SALU_CYCLE_1)
	s_and_b32 s8, s8, exec_lo
	s_or_saveexec_b32 s20, s20
	v_mov_b32_e32 v96, s9
	s_xor_b32 exec_lo, exec_lo, s20
	s_cbranch_execz .LBB2_298
.LBB2_513:                              ;   in Loop: Header=BB2_266 Depth=3
	v_cmp_ne_u16_e32 vcc_lo, 0, v83
	v_mov_b32_e32 v96, 0
	s_and_not1_b32 s8, s8, exec_lo
	s_and_b32 s9, vcc_lo, exec_lo
	s_delay_alu instid0(SALU_CYCLE_1)
	s_or_b32 s8, s8, s9
	s_or_b32 exec_lo, exec_lo, s20
	s_and_saveexec_b32 s9, s8
	s_cbranch_execnz .LBB2_299
	s_branch .LBB2_300
.LBB2_514:                              ;   in Loop: Header=BB2_266 Depth=3
	s_mov_b32 s8, -1
	s_mov_b32 s21, exec_lo
                                        ; implicit-def: $sgpr9
	v_cmpx_eq_u16_e32 0x80, v97
; %bb.515:                              ;   in Loop: Header=BB2_266 Depth=3
	s_mov_b32 s9, 0x7f800001
	s_xor_b32 s8, exec_lo, -1
; %bb.516:                              ;   in Loop: Header=BB2_266 Depth=3
	s_or_b32 exec_lo, exec_lo, s21
	s_delay_alu instid0(SALU_CYCLE_1)
	s_and_b32 s8, s8, exec_lo
                                        ; implicit-def: $vgpr97
	s_or_saveexec_b32 s20, s20
	v_mov_b32_e32 v96, s9
	s_xor_b32 exec_lo, exec_lo, s20
	s_cbranch_execz .LBB2_310
.LBB2_517:                              ;   in Loop: Header=BB2_266 Depth=3
	v_cmp_ne_u16_e32 vcc_lo, 0, v97
	v_mov_b32_e32 v96, 0
	s_and_not1_b32 s8, s8, exec_lo
	s_and_b32 s9, vcc_lo, exec_lo
	s_delay_alu instid0(SALU_CYCLE_1)
	s_or_b32 s8, s8, s9
	s_or_b32 exec_lo, exec_lo, s20
	s_and_saveexec_b32 s9, s8
	s_cbranch_execnz .LBB2_311
	s_branch .LBB2_312
.LBB2_518:                              ;   in Loop: Header=BB2_266 Depth=3
	s_mov_b32 s8, -1
	s_mov_b32 s21, exec_lo
                                        ; implicit-def: $sgpr9
	v_cmpx_eq_u16_e32 0x80, v83
; %bb.519:                              ;   in Loop: Header=BB2_266 Depth=3
	s_mov_b32 s9, 0x7f800001
	s_xor_b32 s8, exec_lo, -1
; %bb.520:                              ;   in Loop: Header=BB2_266 Depth=3
	s_or_b32 exec_lo, exec_lo, s21
	s_delay_alu instid0(SALU_CYCLE_1)
	s_and_b32 s8, s8, exec_lo
	s_or_saveexec_b32 s20, s20
	v_mov_b32_e32 v96, s9
	s_xor_b32 exec_lo, exec_lo, s20
	s_cbranch_execz .LBB2_322
.LBB2_521:                              ;   in Loop: Header=BB2_266 Depth=3
	v_cmp_ne_u16_e32 vcc_lo, 0, v83
	v_mov_b32_e32 v96, 0
	s_and_not1_b32 s8, s8, exec_lo
	s_and_b32 s9, vcc_lo, exec_lo
	s_delay_alu instid0(SALU_CYCLE_1)
	s_or_b32 s8, s8, s9
	s_or_b32 exec_lo, exec_lo, s20
	s_and_saveexec_b32 s9, s8
	s_cbranch_execnz .LBB2_323
	s_branch .LBB2_324
.LBB2_522:                              ;   in Loop: Header=BB2_266 Depth=3
	s_mov_b32 s8, -1
	s_mov_b32 s21, exec_lo
                                        ; implicit-def: $sgpr9
	v_cmpx_eq_u16_e32 0x80, v22
; %bb.523:                              ;   in Loop: Header=BB2_266 Depth=3
	s_mov_b32 s9, 0x7f800001
	s_xor_b32 s8, exec_lo, -1
; %bb.524:                              ;   in Loop: Header=BB2_266 Depth=3
	s_or_b32 exec_lo, exec_lo, s21
	s_delay_alu instid0(SALU_CYCLE_1)
	s_and_b32 s8, s8, exec_lo
                                        ; implicit-def: $vgpr22
	s_or_saveexec_b32 s20, s20
	v_mov_b32_e32 v20, s9
	s_xor_b32 exec_lo, exec_lo, s20
	s_cbranch_execz .LBB2_334
.LBB2_525:                              ;   in Loop: Header=BB2_266 Depth=3
	v_cmp_ne_u16_e32 vcc_lo, 0, v22
	v_mov_b32_e32 v20, 0
	s_and_not1_b32 s8, s8, exec_lo
	s_and_b32 s9, vcc_lo, exec_lo
	s_delay_alu instid0(SALU_CYCLE_1)
	s_or_b32 s8, s8, s9
	s_or_b32 exec_lo, exec_lo, s20
	s_and_saveexec_b32 s9, s8
	s_cbranch_execnz .LBB2_335
	s_branch .LBB2_336
.LBB2_526:                              ;   in Loop: Header=BB2_266 Depth=3
	s_mov_b32 s8, -1
	s_mov_b32 s21, exec_lo
                                        ; implicit-def: $sgpr9
	v_cmpx_eq_u16_e32 0x80, v20
; %bb.527:                              ;   in Loop: Header=BB2_266 Depth=3
	s_mov_b32 s9, 0x7f800001
	s_xor_b32 s8, exec_lo, -1
; %bb.528:                              ;   in Loop: Header=BB2_266 Depth=3
	s_or_b32 exec_lo, exec_lo, s21
	s_delay_alu instid0(SALU_CYCLE_1)
	s_and_b32 s8, s8, exec_lo
	s_or_saveexec_b32 s20, s20
	v_mov_b32_e32 v160, s9
	s_xor_b32 exec_lo, exec_lo, s20
	s_cbranch_execz .LBB2_346
.LBB2_529:                              ;   in Loop: Header=BB2_266 Depth=3
	v_cmp_ne_u16_e32 vcc_lo, 0, v20
	v_mov_b32_e32 v160, 0
	s_and_not1_b32 s8, s8, exec_lo
	s_and_b32 s9, vcc_lo, exec_lo
	s_delay_alu instid0(SALU_CYCLE_1)
	s_or_b32 s8, s8, s9
	s_or_b32 exec_lo, exec_lo, s20
	s_and_saveexec_b32 s9, s8
	s_cbranch_execnz .LBB2_347
	s_branch .LBB2_348
.LBB2_530:                              ;   in Loop: Header=BB2_266 Depth=3
	s_mov_b32 s8, -1
	s_mov_b32 s21, exec_lo
                                        ; implicit-def: $sgpr9
	v_cmpx_eq_u16_e64 0x80, v162
; %bb.531:                              ;   in Loop: Header=BB2_266 Depth=3
	s_mov_b32 s9, 0x7f800001
	s_xor_b32 s8, exec_lo, -1
; %bb.532:                              ;   in Loop: Header=BB2_266 Depth=3
	s_or_b32 exec_lo, exec_lo, s21
	s_delay_alu instid0(SALU_CYCLE_1)
	s_and_b32 s8, s8, exec_lo
                                        ; implicit-def: $vgpr162
	s_or_saveexec_b32 s20, s20
	v_mov_b32_e32 v161, s9
	s_xor_b32 exec_lo, exec_lo, s20
	s_cbranch_execz .LBB2_358
.LBB2_533:                              ;   in Loop: Header=BB2_266 Depth=3
	v_cmp_ne_u16_e64 vcc_lo, 0, v162
	v_mov_b32_e32 v161, 0
	s_and_not1_b32 s8, s8, exec_lo
	s_delay_alu instid0(VALU_DEP_2) | instskip(NEXT) | instid1(SALU_CYCLE_1)
	s_and_b32 s9, vcc_lo, exec_lo
	s_or_b32 s8, s8, s9
	s_or_b32 exec_lo, exec_lo, s20
	s_and_saveexec_b32 s9, s8
	s_cbranch_execnz .LBB2_359
	s_branch .LBB2_360
.LBB2_534:                              ;   in Loop: Header=BB2_266 Depth=3
	s_mov_b32 s8, -1
	s_mov_b32 s21, exec_lo
                                        ; implicit-def: $sgpr9
	v_cmpx_eq_u16_e64 0x80, v161
; %bb.535:                              ;   in Loop: Header=BB2_266 Depth=3
	s_mov_b32 s9, 0x7f800001
	s_xor_b32 s8, exec_lo, -1
; %bb.536:                              ;   in Loop: Header=BB2_266 Depth=3
	s_or_b32 exec_lo, exec_lo, s21
	s_delay_alu instid0(SALU_CYCLE_1)
	s_and_b32 s8, s8, exec_lo
	s_or_saveexec_b32 s20, s20
	v_mov_b32_e32 v162, s9
	s_xor_b32 exec_lo, exec_lo, s20
	s_cbranch_execz .LBB2_370
.LBB2_537:                              ;   in Loop: Header=BB2_266 Depth=3
	v_cmp_ne_u16_e64 vcc_lo, 0, v161
	v_mov_b32_e32 v162, 0
	s_and_not1_b32 s8, s8, exec_lo
	s_delay_alu instid0(VALU_DEP_2) | instskip(NEXT) | instid1(SALU_CYCLE_1)
	s_and_b32 s9, vcc_lo, exec_lo
	s_or_b32 s8, s8, s9
	s_or_b32 exec_lo, exec_lo, s20
	s_and_saveexec_b32 s9, s8
	s_cbranch_execnz .LBB2_371
	s_branch .LBB2_372
.LBB2_538:                              ;   in Loop: Header=BB2_266 Depth=3
	s_mov_b32 s8, -1
	s_mov_b32 s21, exec_lo
                                        ; implicit-def: $sgpr9
	v_cmpx_eq_u16_e64 0x80, v162
; %bb.539:                              ;   in Loop: Header=BB2_266 Depth=3
	s_mov_b32 s9, 0x7f800001
	s_xor_b32 s8, exec_lo, -1
; %bb.540:                              ;   in Loop: Header=BB2_266 Depth=3
	s_or_b32 exec_lo, exec_lo, s21
	s_delay_alu instid0(SALU_CYCLE_1)
	s_and_b32 s8, s8, exec_lo
                                        ; implicit-def: $vgpr162
	s_or_saveexec_b32 s20, s20
	v_mov_b32_e32 v161, s9
	s_xor_b32 exec_lo, exec_lo, s20
	s_cbranch_execz .LBB2_382
.LBB2_541:                              ;   in Loop: Header=BB2_266 Depth=3
	v_cmp_ne_u16_e64 vcc_lo, 0, v162
	v_mov_b32_e32 v161, 0
	s_and_not1_b32 s8, s8, exec_lo
	s_delay_alu instid0(VALU_DEP_2) | instskip(NEXT) | instid1(SALU_CYCLE_1)
	s_and_b32 s9, vcc_lo, exec_lo
	s_or_b32 s8, s8, s9
	s_or_b32 exec_lo, exec_lo, s20
	s_and_saveexec_b32 s9, s8
	s_cbranch_execnz .LBB2_383
	s_branch .LBB2_384
.LBB2_542:                              ;   in Loop: Header=BB2_266 Depth=3
	s_mov_b32 s8, -1
	s_mov_b32 s21, exec_lo
                                        ; implicit-def: $sgpr9
	v_cmpx_eq_u16_e64 0x80, v163
; %bb.543:                              ;   in Loop: Header=BB2_266 Depth=3
	s_mov_b32 s9, 0x7f800001
	s_xor_b32 s8, exec_lo, -1
; %bb.544:                              ;   in Loop: Header=BB2_266 Depth=3
	s_or_b32 exec_lo, exec_lo, s21
	s_delay_alu instid0(SALU_CYCLE_1)
	s_and_b32 s8, s8, exec_lo
                                        ; implicit-def: $vgpr163
	s_or_saveexec_b32 s20, s20
	v_mov_b32_e32 v162, s9
	s_xor_b32 exec_lo, exec_lo, s20
	s_cbranch_execz .LBB2_386
.LBB2_545:                              ;   in Loop: Header=BB2_266 Depth=3
	v_cmp_ne_u16_e64 vcc_lo, 0, v163
	v_mov_b32_e32 v162, 0
	s_and_not1_b32 s8, s8, exec_lo
	s_delay_alu instid0(VALU_DEP_2) | instskip(NEXT) | instid1(SALU_CYCLE_1)
	s_and_b32 s9, vcc_lo, exec_lo
	s_or_b32 s8, s8, s9
	s_or_b32 exec_lo, exec_lo, s20
	s_and_saveexec_b32 s9, s8
	s_cbranch_execnz .LBB2_387
	s_branch .LBB2_388
.LBB2_546:                              ;   in Loop: Header=BB2_266 Depth=3
	s_mov_b32 s8, -1
	s_mov_b32 s21, exec_lo
                                        ; implicit-def: $sgpr9
	v_cmpx_eq_u16_e64 0x80, v162
; %bb.547:                              ;   in Loop: Header=BB2_266 Depth=3
	s_mov_b32 s9, 0x7f800001
	s_xor_b32 s8, exec_lo, -1
; %bb.548:                              ;   in Loop: Header=BB2_266 Depth=3
	s_or_b32 exec_lo, exec_lo, s21
	s_delay_alu instid0(SALU_CYCLE_1)
	s_and_b32 s8, s8, exec_lo
	s_or_saveexec_b32 s20, s20
	v_mov_b32_e32 v161, s9
	s_xor_b32 exec_lo, exec_lo, s20
	s_cbranch_execz .LBB2_398
.LBB2_549:                              ;   in Loop: Header=BB2_266 Depth=3
	v_cmp_ne_u16_e64 vcc_lo, 0, v162
	v_mov_b32_e32 v161, 0
	s_and_not1_b32 s8, s8, exec_lo
	s_delay_alu instid0(VALU_DEP_2) | instskip(NEXT) | instid1(SALU_CYCLE_1)
	s_and_b32 s9, vcc_lo, exec_lo
	s_or_b32 s8, s8, s9
	s_or_b32 exec_lo, exec_lo, s20
	s_and_saveexec_b32 s9, s8
	s_cbranch_execnz .LBB2_399
	s_branch .LBB2_400
.LBB2_550:                              ;   in Loop: Header=BB2_266 Depth=3
	s_mov_b32 s8, -1
	s_mov_b32 s21, exec_lo
                                        ; implicit-def: $sgpr9
	v_cmpx_eq_u16_e64 0x80, v163
; %bb.551:                              ;   in Loop: Header=BB2_266 Depth=3
	s_mov_b32 s9, 0x7f800001
	s_xor_b32 s8, exec_lo, -1
; %bb.552:                              ;   in Loop: Header=BB2_266 Depth=3
	s_or_b32 exec_lo, exec_lo, s21
	s_delay_alu instid0(SALU_CYCLE_1)
	s_and_b32 s8, s8, exec_lo
                                        ; implicit-def: $vgpr163
	s_or_saveexec_b32 s20, s20
	v_mov_b32_e32 v162, s9
	s_xor_b32 exec_lo, exec_lo, s20
	s_cbranch_execz .LBB2_402
.LBB2_553:                              ;   in Loop: Header=BB2_266 Depth=3
	v_cmp_ne_u16_e64 vcc_lo, 0, v163
	v_mov_b32_e32 v162, 0
	s_and_not1_b32 s8, s8, exec_lo
	s_delay_alu instid0(VALU_DEP_2) | instskip(NEXT) | instid1(SALU_CYCLE_1)
	s_and_b32 s9, vcc_lo, exec_lo
	s_or_b32 s8, s8, s9
	s_or_b32 exec_lo, exec_lo, s20
	s_and_saveexec_b32 s9, s8
	s_cbranch_execnz .LBB2_403
	s_branch .LBB2_404
.LBB2_554:                              ;   in Loop: Header=BB2_266 Depth=3
	s_mov_b32 s8, -1
	s_mov_b32 s21, exec_lo
                                        ; implicit-def: $sgpr9
	v_cmpx_eq_u16_e64 0x80, v163
; %bb.555:                              ;   in Loop: Header=BB2_266 Depth=3
	s_mov_b32 s9, 0x7f800001
	s_xor_b32 s8, exec_lo, -1
; %bb.556:                              ;   in Loop: Header=BB2_266 Depth=3
	s_or_b32 exec_lo, exec_lo, s21
	s_delay_alu instid0(SALU_CYCLE_1)
	s_and_b32 s8, s8, exec_lo
                                        ; implicit-def: $vgpr163
	s_or_saveexec_b32 s20, s20
	v_mov_b32_e32 v161, s9
	s_xor_b32 exec_lo, exec_lo, s20
	s_cbranch_execz .LBB2_414
.LBB2_557:                              ;   in Loop: Header=BB2_266 Depth=3
	v_cmp_ne_u16_e64 vcc_lo, 0, v163
	v_mov_b32_e32 v161, 0
	s_and_not1_b32 s8, s8, exec_lo
	s_delay_alu instid0(VALU_DEP_2) | instskip(NEXT) | instid1(SALU_CYCLE_1)
	s_and_b32 s9, vcc_lo, exec_lo
	s_or_b32 s8, s8, s9
	s_or_b32 exec_lo, exec_lo, s20
	s_and_saveexec_b32 s9, s8
	s_cbranch_execnz .LBB2_415
	s_branch .LBB2_416
.LBB2_558:                              ;   in Loop: Header=BB2_266 Depth=3
	s_mov_b32 s8, -1
	s_mov_b32 s21, exec_lo
                                        ; implicit-def: $sgpr9
	v_cmpx_eq_u16_e64 0x80, v163
; %bb.559:                              ;   in Loop: Header=BB2_266 Depth=3
	s_mov_b32 s9, 0x7f800001
	s_xor_b32 s8, exec_lo, -1
; %bb.560:                              ;   in Loop: Header=BB2_266 Depth=3
	s_or_b32 exec_lo, exec_lo, s21
	s_delay_alu instid0(SALU_CYCLE_1)
	s_and_b32 s8, s8, exec_lo
                                        ; implicit-def: $vgpr163
	s_or_saveexec_b32 s20, s20
	v_mov_b32_e32 v162, s9
	s_xor_b32 exec_lo, exec_lo, s20
	s_cbranch_execz .LBB2_418
.LBB2_561:                              ;   in Loop: Header=BB2_266 Depth=3
	v_cmp_ne_u16_e64 vcc_lo, 0, v163
	v_mov_b32_e32 v162, 0
	s_and_not1_b32 s8, s8, exec_lo
	s_delay_alu instid0(VALU_DEP_2) | instskip(NEXT) | instid1(SALU_CYCLE_1)
	s_and_b32 s9, vcc_lo, exec_lo
	s_or_b32 s8, s8, s9
	s_or_b32 exec_lo, exec_lo, s20
	s_and_saveexec_b32 s9, s8
	s_cbranch_execnz .LBB2_419
	s_branch .LBB2_420
.LBB2_562:                              ;   in Loop: Header=BB2_266 Depth=3
	s_mov_b32 s8, -1
	s_mov_b32 s21, exec_lo
                                        ; implicit-def: $sgpr9
	v_cmpx_eq_u16_e64 0x80, v162
; %bb.563:                              ;   in Loop: Header=BB2_266 Depth=3
	s_mov_b32 s9, 0x7f800001
	s_xor_b32 s8, exec_lo, -1
; %bb.564:                              ;   in Loop: Header=BB2_266 Depth=3
	s_or_b32 exec_lo, exec_lo, s21
	s_delay_alu instid0(SALU_CYCLE_1)
	s_and_b32 s8, s8, exec_lo
	s_or_saveexec_b32 s20, s20
	v_mov_b32_e32 v161, s9
	s_xor_b32 exec_lo, exec_lo, s20
	s_cbranch_execz .LBB2_430
.LBB2_565:                              ;   in Loop: Header=BB2_266 Depth=3
	v_cmp_ne_u16_e64 vcc_lo, 0, v162
	v_mov_b32_e32 v161, 0
	s_and_not1_b32 s8, s8, exec_lo
	s_delay_alu instid0(VALU_DEP_2) | instskip(NEXT) | instid1(SALU_CYCLE_1)
	s_and_b32 s9, vcc_lo, exec_lo
	s_or_b32 s8, s8, s9
	s_or_b32 exec_lo, exec_lo, s20
	s_and_saveexec_b32 s9, s8
	s_cbranch_execnz .LBB2_431
	s_branch .LBB2_432
.LBB2_566:                              ;   in Loop: Header=BB2_266 Depth=3
	s_mov_b32 s8, -1
	s_mov_b32 s21, exec_lo
                                        ; implicit-def: $sgpr9
	v_cmpx_eq_u16_e32 0x80, v19
; %bb.567:                              ;   in Loop: Header=BB2_266 Depth=3
	s_mov_b32 s9, 0x7f800001
	s_xor_b32 s8, exec_lo, -1
; %bb.568:                              ;   in Loop: Header=BB2_266 Depth=3
	s_or_b32 exec_lo, exec_lo, s21
	s_delay_alu instid0(SALU_CYCLE_1)
	s_and_b32 s8, s8, exec_lo
	s_or_saveexec_b32 s20, s20
	v_mov_b32_e32 v162, s9
	s_xor_b32 exec_lo, exec_lo, s20
	s_cbranch_execz .LBB2_434
.LBB2_569:                              ;   in Loop: Header=BB2_266 Depth=3
	v_cmp_ne_u16_e32 vcc_lo, 0, v19
	v_mov_b32_e32 v162, 0
	s_and_not1_b32 s8, s8, exec_lo
	s_and_b32 s9, vcc_lo, exec_lo
	s_delay_alu instid0(SALU_CYCLE_1)
	s_or_b32 s8, s8, s9
	s_or_b32 exec_lo, exec_lo, s20
	s_and_saveexec_b32 s9, s8
	s_cbranch_execnz .LBB2_435
	s_branch .LBB2_436
.LBB2_570:                              ;   in Loop: Header=BB2_266 Depth=3
	s_mov_b32 s8, -1
	s_mov_b32 s21, exec_lo
                                        ; implicit-def: $sgpr9
	v_cmpx_eq_u16_e32 0x80, v96
; %bb.571:                              ;   in Loop: Header=BB2_266 Depth=3
	s_mov_b32 s9, 0x7f800001
	s_xor_b32 s8, exec_lo, -1
; %bb.572:                              ;   in Loop: Header=BB2_266 Depth=3
	s_or_b32 exec_lo, exec_lo, s21
	s_delay_alu instid0(SALU_CYCLE_1)
	s_and_b32 s8, s8, exec_lo
                                        ; implicit-def: $vgpr96
	s_or_saveexec_b32 s20, s20
	v_mov_b32_e32 v162, s9
	s_xor_b32 exec_lo, exec_lo, s20
	s_cbranch_execz .LBB2_446
.LBB2_573:                              ;   in Loop: Header=BB2_266 Depth=3
	v_cmp_ne_u16_e32 vcc_lo, 0, v96
	v_mov_b32_e32 v162, 0
	s_and_not1_b32 s8, s8, exec_lo
	s_and_b32 s9, vcc_lo, exec_lo
	s_delay_alu instid0(SALU_CYCLE_1)
	s_or_b32 s8, s8, s9
	s_or_b32 exec_lo, exec_lo, s20
	s_and_saveexec_b32 s9, s8
	s_cbranch_execnz .LBB2_447
	s_branch .LBB2_448
.LBB2_574:                              ;   in Loop: Header=BB2_266 Depth=3
	s_mov_b32 s8, -1
	s_mov_b32 s21, exec_lo
                                        ; implicit-def: $sgpr9
	v_cmpx_eq_u16_e64 0x80, v160
; %bb.575:                              ;   in Loop: Header=BB2_266 Depth=3
	s_mov_b32 s9, 0x7f800001
	s_xor_b32 s8, exec_lo, -1
; %bb.576:                              ;   in Loop: Header=BB2_266 Depth=3
	s_or_b32 exec_lo, exec_lo, s21
	s_delay_alu instid0(SALU_CYCLE_1)
	s_and_b32 s8, s8, exec_lo
                                        ; implicit-def: $vgpr160
	s_or_saveexec_b32 s20, s20
	v_mov_b32_e32 v22, s9
	s_xor_b32 exec_lo, exec_lo, s20
	s_cbranch_execz .LBB2_450
.LBB2_577:                              ;   in Loop: Header=BB2_266 Depth=3
	v_cmp_ne_u16_e64 vcc_lo, 0, v160
	v_mov_b32_e32 v22, 0
	s_and_not1_b32 s8, s8, exec_lo
	s_delay_alu instid0(VALU_DEP_2) | instskip(NEXT) | instid1(SALU_CYCLE_1)
	s_and_b32 s9, vcc_lo, exec_lo
	s_or_b32 s8, s8, s9
	s_or_b32 exec_lo, exec_lo, s20
	s_and_saveexec_b32 s9, s8
	s_cbranch_execnz .LBB2_451
	s_branch .LBB2_452
.LBB2_578:                              ;   in Loop: Header=BB2_266 Depth=3
	s_mov_b32 s8, -1
	s_mov_b32 s21, exec_lo
                                        ; implicit-def: $sgpr9
	v_cmpx_eq_u16_e64 0x80, v161
; %bb.579:                              ;   in Loop: Header=BB2_266 Depth=3
	s_mov_b32 s9, 0x7f800001
	s_xor_b32 s8, exec_lo, -1
; %bb.580:                              ;   in Loop: Header=BB2_266 Depth=3
	s_or_b32 exec_lo, exec_lo, s21
	s_delay_alu instid0(SALU_CYCLE_1)
	s_and_b32 s8, s8, exec_lo
	s_or_saveexec_b32 s20, s20
	v_mov_b32_e32 v160, s9
	s_xor_b32 exec_lo, exec_lo, s20
	s_cbranch_execz .LBB2_462
.LBB2_581:                              ;   in Loop: Header=BB2_266 Depth=3
	v_cmp_ne_u16_e64 vcc_lo, 0, v161
	v_mov_b32_e32 v160, 0
	s_and_not1_b32 s8, s8, exec_lo
	s_delay_alu instid0(VALU_DEP_2) | instskip(NEXT) | instid1(SALU_CYCLE_1)
	s_and_b32 s9, vcc_lo, exec_lo
	s_or_b32 s8, s8, s9
	s_or_b32 exec_lo, exec_lo, s20
	s_and_saveexec_b32 s9, s8
	s_cbranch_execnz .LBB2_463
	s_branch .LBB2_464
.LBB2_582:                              ;   in Loop: Header=BB2_266 Depth=3
	s_mov_b32 s8, -1
	s_mov_b32 s21, exec_lo
                                        ; implicit-def: $sgpr9
	v_cmpx_eq_u16_e64 0x80, v161
; %bb.583:                              ;   in Loop: Header=BB2_266 Depth=3
	s_mov_b32 s9, 0x7f800001
	s_xor_b32 s8, exec_lo, -1
; %bb.584:                              ;   in Loop: Header=BB2_266 Depth=3
	s_or_b32 exec_lo, exec_lo, s21
	s_delay_alu instid0(SALU_CYCLE_1)
	s_and_b32 s8, s8, exec_lo
	s_or_saveexec_b32 s20, s20
	v_mov_b32_e32 v162, s9
	s_xor_b32 exec_lo, exec_lo, s20
	s_cbranch_execz .LBB2_466
.LBB2_585:                              ;   in Loop: Header=BB2_266 Depth=3
	v_cmp_ne_u16_e64 vcc_lo, 0, v161
	v_mov_b32_e32 v162, 0
	s_and_not1_b32 s8, s8, exec_lo
	s_delay_alu instid0(VALU_DEP_2) | instskip(NEXT) | instid1(SALU_CYCLE_1)
	s_and_b32 s9, vcc_lo, exec_lo
	s_or_b32 s8, s8, s9
	s_or_b32 exec_lo, exec_lo, s20
	s_and_saveexec_b32 s9, s8
	s_cbranch_execnz .LBB2_467
	s_branch .LBB2_468
.LBB2_586:                              ;   in Loop: Header=BB2_266 Depth=3
	s_mov_b32 s8, -1
	s_mov_b32 s21, exec_lo
                                        ; implicit-def: $sgpr9
	v_cmpx_eq_u16_e64 0x80, v163
; %bb.587:                              ;   in Loop: Header=BB2_266 Depth=3
	s_mov_b32 s9, 0x7f800001
	s_xor_b32 s8, exec_lo, -1
; %bb.588:                              ;   in Loop: Header=BB2_266 Depth=3
	s_or_b32 exec_lo, exec_lo, s21
	s_delay_alu instid0(SALU_CYCLE_1)
	s_and_b32 s8, s8, exec_lo
                                        ; implicit-def: $vgpr163
	s_or_saveexec_b32 s20, s20
	v_mov_b32_e32 v161, s9
	s_xor_b32 exec_lo, exec_lo, s20
	s_cbranch_execz .LBB2_478
.LBB2_589:                              ;   in Loop: Header=BB2_266 Depth=3
	v_cmp_ne_u16_e64 vcc_lo, 0, v163
	v_mov_b32_e32 v161, 0
	s_and_not1_b32 s8, s8, exec_lo
	s_delay_alu instid0(VALU_DEP_2) | instskip(NEXT) | instid1(SALU_CYCLE_1)
	s_and_b32 s9, vcc_lo, exec_lo
	s_or_b32 s8, s8, s9
	s_or_b32 exec_lo, exec_lo, s20
	s_and_saveexec_b32 s9, s8
	s_cbranch_execnz .LBB2_479
	s_branch .LBB2_480
.LBB2_590:                              ;   in Loop: Header=BB2_266 Depth=3
	s_mov_b32 s8, -1
	s_mov_b32 s21, exec_lo
                                        ; implicit-def: $sgpr9
	v_cmpx_eq_u16_e32 0x80, v83
; %bb.591:                              ;   in Loop: Header=BB2_266 Depth=3
	s_mov_b32 s9, 0x7f800001
	s_xor_b32 s8, exec_lo, -1
; %bb.592:                              ;   in Loop: Header=BB2_266 Depth=3
	s_or_b32 exec_lo, exec_lo, s21
	s_delay_alu instid0(SALU_CYCLE_1)
	s_and_b32 s8, s8, exec_lo
                                        ; implicit-def: $vgpr83
	s_or_saveexec_b32 s20, s20
	v_mov_b32_e32 v162, s9
	s_xor_b32 exec_lo, exec_lo, s20
	s_cbranch_execz .LBB2_482
.LBB2_593:                              ;   in Loop: Header=BB2_266 Depth=3
	v_cmp_ne_u16_e32 vcc_lo, 0, v83
	v_mov_b32_e32 v162, 0
	s_and_not1_b32 s8, s8, exec_lo
	s_and_b32 s9, vcc_lo, exec_lo
	s_delay_alu instid0(SALU_CYCLE_1)
	s_or_b32 s8, s8, s9
	s_or_b32 exec_lo, exec_lo, s20
	v_lshl_or_b32 v83, v20, 16, v96
	s_and_saveexec_b32 s9, s8
	s_cbranch_execnz .LBB2_483
	s_branch .LBB2_484
.LBB2_594:                              ;   in Loop: Header=BB2_266 Depth=3
	s_mov_b32 s8, -1
	s_mov_b32 s21, exec_lo
                                        ; implicit-def: $sgpr9
	v_cmpx_eq_u16_e64 0x80, v161
; %bb.595:                              ;   in Loop: Header=BB2_266 Depth=3
	s_mov_b32 s9, 0x7f800001
	s_xor_b32 s8, exec_lo, -1
; %bb.596:                              ;   in Loop: Header=BB2_266 Depth=3
	s_or_b32 exec_lo, exec_lo, s21
	s_delay_alu instid0(SALU_CYCLE_1)
	s_and_b32 s8, s8, exec_lo
	s_or_saveexec_b32 s20, s20
	v_mov_b32_e32 v96, s9
	s_xor_b32 exec_lo, exec_lo, s20
	s_cbranch_execz .LBB2_494
.LBB2_597:                              ;   in Loop: Header=BB2_266 Depth=3
	v_cmp_ne_u16_e64 vcc_lo, 0, v161
	v_mov_b32_e32 v96, 0
	s_and_not1_b32 s8, s8, exec_lo
	s_delay_alu instid0(VALU_DEP_2) | instskip(NEXT) | instid1(SALU_CYCLE_1)
	s_and_b32 s9, vcc_lo, exec_lo
	s_or_b32 s8, s8, s9
	s_or_b32 exec_lo, exec_lo, s20
	s_and_saveexec_b32 s9, s8
	s_cbranch_execnz .LBB2_495
	s_branch .LBB2_496
.LBB2_598:                              ;   in Loop: Header=BB2_266 Depth=3
	s_mov_b32 s8, -1
	s_mov_b32 s21, exec_lo
                                        ; implicit-def: $sgpr9
	v_cmpx_eq_u16_e32 0x80, v21
; %bb.599:                              ;   in Loop: Header=BB2_266 Depth=3
	s_mov_b32 s9, 0x7f800001
	s_xor_b32 s8, exec_lo, -1
; %bb.600:                              ;   in Loop: Header=BB2_266 Depth=3
	s_or_b32 exec_lo, exec_lo, s21
	s_delay_alu instid0(SALU_CYCLE_1)
	s_and_b32 s8, s8, exec_lo
	s_or_saveexec_b32 s20, s20
	v_mov_b32_e32 v161, s9
	s_xor_b32 exec_lo, exec_lo, s20
	s_cbranch_execz .LBB2_498
.LBB2_601:                              ;   in Loop: Header=BB2_266 Depth=3
	v_cmp_ne_u16_e32 vcc_lo, 0, v21
	v_mov_b32_e32 v161, 0
	s_and_not1_b32 s8, s8, exec_lo
	s_and_b32 s9, vcc_lo, exec_lo
	s_delay_alu instid0(SALU_CYCLE_1)
	s_or_b32 s8, s8, s9
	s_or_b32 exec_lo, exec_lo, s20
	s_and_saveexec_b32 s9, s8
	s_cbranch_execnz .LBB2_499
	s_branch .LBB2_500
.LBB2_602:                              ;   in Loop: Header=BB2_221 Depth=2
	s_or_b32 exec_lo, exec_lo, s19
.LBB2_603:                              ;   in Loop: Header=BB2_221 Depth=2
	s_delay_alu instid0(SALU_CYCLE_1)
	s_or_b32 exec_lo, exec_lo, s18
	s_and_saveexec_b32 s8, s3
	s_cbranch_execz .LBB2_625
; %bb.604:                              ;   in Loop: Header=BB2_221 Depth=2
	s_and_saveexec_b32 s9, s4
	s_delay_alu instid0(SALU_CYCLE_1)
	s_xor_b32 s9, exec_lo, s9
	s_cbranch_execz .LBB2_622
; %bb.605:                              ;   in Loop: Header=BB2_221 Depth=2
	s_and_saveexec_b32 s18, s5
	s_cbranch_execz .LBB2_621
; %bb.606:                              ;   in Loop: Header=BB2_221 Depth=2
	s_mov_b32 s20, exec_lo
	s_mov_b32 s19, exec_lo
	v_mbcnt_lo_u32_b32 v17, s20, 0
	s_waitcnt vmcnt(0) lgkmcnt(0)
	s_waitcnt_vscnt null, 0x0
	buffer_gl1_inv
	buffer_gl0_inv
	v_cmpx_eq_u32_e32 0, v17
	s_cbranch_execz .LBB2_608
; %bb.607:                              ;   in Loop: Header=BB2_221 Depth=2
	s_bcnt1_i32_b32 s20, s20
	s_delay_alu instid0(SALU_CYCLE_1)
	v_mov_b32_e32 v54, s20
	ds_add_u64 v0, v[54:55]
	s_cbranch_execnz .LBB2_1074
.LBB2_608:                              ;   in Loop: Header=BB2_221 Depth=2
	s_or_b32 exec_lo, exec_lo, s19
	s_cbranch_execnz .LBB2_1066
; %bb.609:                              ;   in Loop: Header=BB2_221 Depth=2
	ds_load_b64 v[17:18], v0
	v_add_co_u32 v2, vcc_lo, v2, v101
	v_add_co_ci_u32_e32 v3, vcc_lo, v3, v112, vcc_lo
	s_mov_b32 s19, exec_lo
	s_waitcnt lgkmcnt(0)
	s_delay_alu instid0(VALU_DEP_1)
	v_cmpx_lt_u64_e64 v[17:18], v[2:3]
	s_cbranch_execz .LBB2_620
; %bb.610:                              ;   in Loop: Header=BB2_221 Depth=2
	s_mov_b32 s20, 0
	s_mov_b32 s23, 0
                                        ; implicit-def: $sgpr21
                                        ; implicit-def: $sgpr22
	s_branch .LBB2_612
.LBB2_611:                              ;   in Loop: Header=BB2_612 Depth=3
	s_or_b32 exec_lo, exec_lo, s26
	s_delay_alu instid0(SALU_CYCLE_1) | instskip(NEXT) | instid1(SALU_CYCLE_1)
	s_and_b32 s24, exec_lo, s25
	s_or_b32 s20, s24, s20
	s_and_not1_b32 s21, s21, exec_lo
	s_and_b32 s24, s22, exec_lo
	s_delay_alu instid0(SALU_CYCLE_1)
	s_or_b32 s21, s21, s24
	s_and_not1_b32 exec_lo, exec_lo, s20
	s_cbranch_execz .LBB2_618
.LBB2_612:                              ;   Parent Loop BB2_40 Depth=1
                                        ;     Parent Loop BB2_221 Depth=2
                                        ; =>    This Inner Loop Header: Depth=3
	s_add_i32 s23, s23, 1
                                        ; implicit-def: $sgpr25
	s_delay_alu instid0(SALU_CYCLE_1) | instskip(SKIP_1) | instid1(SALU_CYCLE_1)
	s_cmpk_lg_i32 s23, 0x2710
	s_cselect_b32 s24, -1, 0
	s_and_b32 vcc_lo, exec_lo, s24
	s_cbranch_vccz .LBB2_616
.LBB2_613:                              ;   in Loop: Header=BB2_612 Depth=3
	s_and_not1_b32 s22, s22, exec_lo
	s_and_b32 s26, s25, exec_lo
	s_mov_b32 s25, -1
	s_or_b32 s22, s22, s26
	s_and_saveexec_b32 s26, s24
	s_cbranch_execz .LBB2_611
; %bb.614:                              ;   in Loop: Header=BB2_612 Depth=3
	s_sleep 1
	s_cbranch_execnz .LBB2_1086
; %bb.615:                              ;   in Loop: Header=BB2_612 Depth=3
	ds_load_b64 v[17:18], v0
	s_and_not1_b32 s22, s22, exec_lo
	s_waitcnt lgkmcnt(0)
	v_cmp_ge_u64_e32 vcc_lo, v[17:18], v[2:3]
	s_or_not1_b32 s25, vcc_lo, exec_lo
	s_branch .LBB2_611
.LBB2_616:                              ;   in Loop: Header=BB2_612 Depth=3
	s_cbranch_execnz .LBB2_1088
; %bb.617:                              ;   in Loop: Header=BB2_612 Depth=3
	ds_load_b64 v[17:18], v0
	s_and_not1_b32 s24, s24, exec_lo
	s_mov_b32 s23, 0
	s_mov_b32 s25, -1
	s_waitcnt lgkmcnt(0)
	flat_load_b32 v17, v[17:18] glc
	s_waitcnt vmcnt(0) lgkmcnt(0)
	buffer_gl1_inv
	buffer_gl0_inv
	v_cmp_eq_u32_e32 vcc_lo, 0, v17
	s_and_b32 s26, vcc_lo, exec_lo
	s_delay_alu instid0(SALU_CYCLE_1)
	s_or_b32 s24, s24, s26
	s_branch .LBB2_613
.LBB2_618:                              ;   in Loop: Header=BB2_221 Depth=2
	s_or_b32 exec_lo, exec_lo, s20
	s_and_saveexec_b32 s20, s21
	s_delay_alu instid0(SALU_CYCLE_1)
	s_xor_b32 s20, exec_lo, s20
	s_cbranch_execz .LBB2_620
; %bb.619:                              ;   in Loop: Header=BB2_221 Depth=2
	ds_store_b32 v0, v130
	s_cbranch_execnz .LBB2_1107
.LBB2_620:                              ;   in Loop: Header=BB2_221 Depth=2
	s_or_b32 exec_lo, exec_lo, s19
	;;#ASMSTART
	s_wakeup
	;;#ASMEND
.LBB2_621:                              ;   in Loop: Header=BB2_221 Depth=2
	s_or_b32 exec_lo, exec_lo, s18
.LBB2_622:                              ;   in Loop: Header=BB2_221 Depth=2
	s_and_not1_saveexec_b32 s9, s9
	s_cbranch_execz .LBB2_624
; %bb.623:                              ;   in Loop: Header=BB2_221 Depth=2
	s_waitcnt vmcnt(0) lgkmcnt(0)
	s_waitcnt_vscnt null, 0x0
	buffer_gl1_inv
	buffer_gl0_inv
	s_barrier
.LBB2_624:                              ;   in Loop: Header=BB2_221 Depth=2
	s_or_b32 exec_lo, exec_lo, s9
.LBB2_625:                              ;   in Loop: Header=BB2_221 Depth=2
	s_delay_alu instid0(SALU_CYCLE_1)
	s_or_b32 exec_lo, exec_lo, s8
	s_and_saveexec_b32 s8, s6
	s_cbranch_execz .LBB2_627
; %bb.626:                              ;   in Loop: Header=BB2_221 Depth=2
	v_add_co_u32 v48, vcc_lo, v48, 1
	v_add_co_ci_u32_e32 v49, vcc_lo, 0, v49, vcc_lo
	s_waitcnt vmcnt(0) lgkmcnt(0)
	s_waitcnt_vscnt null, 0x0
	flat_store_b64 v[36:37], v[48:49]
.LBB2_627:                              ;   in Loop: Header=BB2_221 Depth=2
	s_or_b32 exec_lo, exec_lo, s8
	v_and_b32_e32 v54, 0x7ffffff8, v70
	v_cmp_gt_i32_e64 s8, s14, v82
	s_delay_alu instid0(VALU_DEP_2) | instskip(NEXT) | instid1(VALU_DEP_2)
	v_cmp_eq_u64_e32 vcc_lo, 0x7ffffff8, v[54:55]
	s_and_b32 s8, vcc_lo, s8
	s_delay_alu instid0(SALU_CYCLE_1)
	s_and_saveexec_b32 s9, s8
	s_cbranch_execz .LBB2_630
; %bb.628:                              ;   in Loop: Header=BB2_221 Depth=2
	v_and_b32_e32 v17, 7, v144
	v_ashrrev_i32_e32 v83, 31, v82
	v_mov_b32_e32 v21, v70
	s_mov_b32 s18, 0
	s_delay_alu instid0(VALU_DEP_3) | instskip(SKIP_2) | instid1(VALU_DEP_2)
	v_mul_lo_u32 v17, s14, v17
	s_waitcnt vmcnt(0) lgkmcnt(0)
	v_lshlrev_b64 v[19:20], 4, v[82:83]
	v_ashrrev_i32_e32 v18, 31, v17
	s_delay_alu instid0(VALU_DEP_1) | instskip(NEXT) | instid1(VALU_DEP_1)
	v_lshlrev_b64 v[17:18], 4, v[17:18]
	v_add_co_u32 v19, vcc_lo, v19, v17
	s_delay_alu instid0(VALU_DEP_2) | instskip(SKIP_2) | instid1(VALU_DEP_4)
	v_add_co_ci_u32_e32 v20, vcc_lo, v20, v18, vcc_lo
	v_add_co_u32 v17, vcc_lo, 0, 0
	v_add_co_ci_u32_e32 v18, vcc_lo, 1, v21, vcc_lo
	v_add_co_u32 v21, vcc_lo, v38, v19
	s_delay_alu instid0(VALU_DEP_4)
	v_add_co_ci_u32_e32 v22, vcc_lo, v39, v20, vcc_lo
.LBB2_629:                              ;   Parent Loop BB2_40 Depth=1
                                        ;     Parent Loop BB2_221 Depth=2
                                        ; =>    This Inner Loop Header: Depth=3
	s_delay_alu instid0(VALU_DEP_4) | instskip(NEXT) | instid1(VALU_DEP_4)
	v_dual_mov_b32 v19, v17 :: v_dual_add_nc_u32 v82, v82, v1
	v_mov_b32_e32 v20, v18
	s_delay_alu instid0(VALU_DEP_2) | instskip(SKIP_2) | instid1(VALU_DEP_1)
	v_cmp_le_i32_e32 vcc_lo, s14, v82
	global_store_b128 v[21:22], v[17:20], off
	v_add_co_u32 v21, s8, v21, v68
	v_add_co_ci_u32_e64 v22, s8, v22, v69, s8
	s_or_b32 s18, vcc_lo, s18
	s_delay_alu instid0(SALU_CYCLE_1)
	s_and_not1_b32 exec_lo, exec_lo, s18
	s_cbranch_execnz .LBB2_629
.LBB2_630:                              ;   in Loop: Header=BB2_221 Depth=2
	s_or_b32 exec_lo, exec_lo, s9
	v_add_co_u32 v32, vcc_lo, v32, 1
	v_add_co_ci_u32_e32 v33, vcc_lo, 0, v33, vcc_lo
	v_add_co_u32 v70, vcc_lo, v70, 1
	v_add_co_ci_u32_e32 v71, vcc_lo, 0, v71, vcc_lo
	v_add_nc_u16 v144, v144, 1
	s_add_i32 s17, s17, 1
	s_delay_alu instid0(SALU_CYCLE_1)
	s_cmp_eq_u32 s17, s10
	s_cbranch_scc0 .LBB2_221
.LBB2_631:                              ;   in Loop: Header=BB2_40 Depth=1
	s_delay_alu instid0(VALU_DEP_1)
	v_dual_mov_b32 v21, v70 :: v_dual_mov_b32 v22, v71
	s_and_saveexec_b32 s9, s7
	s_cbranch_execz .LBB2_991
; %bb.632:                              ;   in Loop: Header=BB2_40 Depth=1
	flat_load_b32 v54, v[23:24]
	v_and_b32_e32 v17, 7, v32
	s_waitcnt vmcnt(1) lgkmcnt(1)
	v_add_co_u32 v19, vcc_lo, v11, v134
	v_add_co_ci_u32_e32 v20, vcc_lo, v12, v135, vcc_lo
	s_delay_alu instid0(VALU_DEP_3) | instskip(SKIP_1) | instid1(VALU_DEP_1)
	v_mul_lo_u32 v17, v17, s14
	s_mov_b32 s17, 0
	v_ashrrev_i32_e32 v18, 31, v17
	s_delay_alu instid0(VALU_DEP_1)
	v_lshlrev_b64 v[17:18], 4, v[17:18]
	s_waitcnt vmcnt(0) lgkmcnt(0)
	v_ashrrev_i32_e32 v70, 31, v54
	v_mul_lo_u32 v82, v100, v54
	v_mad_u64_u32 v[80:81], null, v99, v54, v[19:20]
	v_add_nc_u32_e32 v54, 1, v32
	s_delay_alu instid0(VALU_DEP_4)
	v_mul_lo_u32 v19, v99, v70
	v_add_co_u32 v70, vcc_lo, v117, v134
	v_add_co_ci_u32_e32 v71, vcc_lo, v118, v135, vcc_lo
	v_add_co_u32 v83, vcc_lo, v29, v17
	v_add_co_ci_u32_e32 v84, vcc_lo, v30, v18, vcc_lo
	v_add3_u32 v19, v82, v81, v19
	v_add_co_u32 v85, vcc_lo, v80, v102
	v_mov_b32_e32 v80, v4
	s_delay_alu instid0(VALU_DEP_3)
	v_add_co_ci_u32_e32 v86, vcc_lo, v19, v113, vcc_lo
	s_branch .LBB2_634
.LBB2_633:                              ;   in Loop: Header=BB2_634 Depth=2
	v_sub_nc_u32_e32 v132, v132, v103
	v_add_co_u32 v85, vcc_lo, v85, v103
	v_add_co_ci_u32_e32 v86, vcc_lo, v86, v114, vcc_lo
	s_delay_alu instid0(VALU_DEP_3) | instskip(SKIP_1) | instid1(VALU_DEP_1)
	v_cmp_gt_i32_e32 vcc_lo, 1, v132
	v_add_co_u32 v70, s7, v70, v103
	v_add_co_ci_u32_e64 v71, s7, v71, v114, s7
	v_add_nc_u32_e32 v80, v80, v1
	s_or_b32 s17, vcc_lo, s17
	s_delay_alu instid0(SALU_CYCLE_1)
	s_and_not1_b32 exec_lo, exec_lo, s17
	s_cbranch_execz .LBB2_990
.LBB2_634:                              ;   Parent Loop BB2_40 Depth=1
                                        ; =>  This Loop Header: Depth=2
                                        ;       Child Loop BB2_642 Depth 3
	s_delay_alu instid0(VALU_DEP_1)
	v_dual_mov_b32 v18, v86 :: v_dual_and_b32 v17, -4, v85
	v_min_u32_e32 v19, 8, v132
	v_dual_mov_b32 v87, 0 :: v_dual_and_b32 v20, 3, v85
	v_mov_b32_e32 v133, 0
	flat_load_b32 v96, v[17:18] glc
	v_add_co_u32 v19, s7, v20, v19
	s_delay_alu instid0(VALU_DEP_1) | instskip(SKIP_1) | instid1(VALU_DEP_1)
	v_add_co_ci_u32_e64 v20, null, 0, 0, s7
	s_mov_b32 s7, exec_lo
	v_cmpx_lt_u64_e32 4, v[19:20]
	s_cbranch_execz .LBB2_636
; %bb.635:                              ;   in Loop: Header=BB2_634 Depth=2
	flat_load_b32 v133, v[17:18] offset:4 glc
.LBB2_636:                              ;   in Loop: Header=BB2_634 Depth=2
	s_or_b32 exec_lo, exec_lo, s7
	s_delay_alu instid0(SALU_CYCLE_1)
	s_mov_b32 s7, exec_lo
	v_cmpx_lt_u64_e32 8, v[19:20]
	s_cbranch_execz .LBB2_638
; %bb.637:                              ;   in Loop: Header=BB2_634 Depth=2
	flat_load_b32 v87, v[17:18] offset:8 glc
.LBB2_638:                              ;   in Loop: Header=BB2_634 Depth=2
	s_or_b32 exec_lo, exec_lo, s7
	v_ashrrev_i32_e32 v81, 31, v80
	s_delay_alu instid0(VALU_DEP_1) | instskip(NEXT) | instid1(VALU_DEP_1)
	v_lshlrev_b64 v[17:18], 4, v[80:81]
	v_add_co_u32 v81, vcc_lo, v83, v17
	s_delay_alu instid0(VALU_DEP_2)
	v_add_co_ci_u32_e32 v82, vcc_lo, v84, v18, vcc_lo
	v_cmp_eq_u32_e32 vcc_lo, 0, v131
	;;#ASMSTART
	global_load_b128 v[17:20], v[81:82], off glc slc dlc
s_waitcnt vmcnt(0)

	;;#ASMEND
	s_and_saveexec_b32 s18, vcc_lo
	s_cbranch_execz .LBB2_652
; %bb.639:                              ;   in Loop: Header=BB2_634 Depth=2
	v_cmp_ne_u32_e64 s7, v54, v18
	v_cmp_ne_u32_e64 s8, v54, v20
	v_mov_b32_e32 v131, 0
	s_delay_alu instid0(VALU_DEP_2) | instskip(NEXT) | instid1(SALU_CYCLE_1)
	s_or_b32 s7, s7, s8
	s_and_saveexec_b32 s8, s7
	s_cbranch_execz .LBB2_651
; %bb.640:                              ;   in Loop: Header=BB2_634 Depth=2
	v_cndmask_b32_e64 v97, 0, 1, vcc_lo
	s_mov_b32 s19, 0
                                        ; implicit-def: $sgpr20
                                        ; implicit-def: $sgpr21
	s_branch .LBB2_642
.LBB2_641:                              ;   in Loop: Header=BB2_642 Depth=3
	s_or_b32 exec_lo, exec_lo, s22
	s_delay_alu instid0(SALU_CYCLE_1) | instskip(NEXT) | instid1(SALU_CYCLE_1)
	s_and_b32 s7, exec_lo, s7
	s_or_b32 s19, s7, s19
	s_and_not1_b32 s7, s20, exec_lo
	s_and_b32 s20, s21, exec_lo
	s_delay_alu instid0(SALU_CYCLE_1)
	s_or_b32 s20, s7, s20
	s_and_not1_b32 exec_lo, exec_lo, s19
	s_cbranch_execz .LBB2_650
.LBB2_642:                              ;   Parent Loop BB2_40 Depth=1
                                        ;     Parent Loop BB2_634 Depth=2
                                        ; =>    This Inner Loop Header: Depth=3
	s_delay_alu instid0(VALU_DEP_1)
	v_add_nc_u32_e32 v97, 1, v97
	v_mov_b32_e32 v131, 0
	s_mov_b32 s7, -1
	s_mov_b32 s23, -1
	s_mov_b32 s22, exec_lo
	;;#ASMSTART
	global_load_b128 v[17:20], v[81:82], off glc slc dlc
s_waitcnt vmcnt(0)

	;;#ASMEND
	v_cmpx_eq_u32_e32 0x2710, v97
	s_cbranch_execz .LBB2_648
; %bb.643:                              ;   in Loop: Header=BB2_642 Depth=3
	s_cbranch_execnz .LBB2_1033
; %bb.644:                              ;   in Loop: Header=BB2_642 Depth=3
	ds_load_b64 v[134:135], v0
	v_mov_b32_e32 v97, 0
	v_mov_b32_e32 v131, 0
	s_mov_b32 s24, -1
	s_mov_b32 s23, exec_lo
	s_waitcnt vmcnt(0) lgkmcnt(0)
	s_waitcnt_vscnt null, 0x0
	flat_load_b32 v134, v[134:135] glc
	s_waitcnt vmcnt(0) lgkmcnt(0)
	buffer_gl1_inv
	buffer_gl0_inv
	v_cmpx_ne_u32_e32 0, v134
	s_cbranch_execz .LBB2_647
; %bb.645:                              ;   in Loop: Header=BB2_642 Depth=3
	ds_store_b32 v0, v134
	s_cbranch_execnz .LBB2_1045
; %bb.646:                              ;   in Loop: Header=BB2_642 Depth=3
	v_mov_b32_e32 v131, 1
	s_xor_b32 s24, exec_lo, -1
.LBB2_647:                              ;   in Loop: Header=BB2_642 Depth=3
	s_or_b32 exec_lo, exec_lo, s23
	s_delay_alu instid0(SALU_CYCLE_1)
	s_or_not1_b32 s23, s24, exec_lo
.LBB2_648:                              ;   in Loop: Header=BB2_642 Depth=3
	s_or_b32 exec_lo, exec_lo, s22
	s_delay_alu instid0(SALU_CYCLE_1)
	s_or_b32 s21, s21, exec_lo
	s_and_saveexec_b32 s22, s23
	s_cbranch_execz .LBB2_641
; %bb.649:                              ;   in Loop: Header=BB2_642 Depth=3
	v_cmp_eq_u32_e32 vcc_lo, v54, v18
	v_cmp_eq_u32_e64 s7, v54, v20
	s_and_not1_b32 s21, s21, exec_lo
	s_delay_alu instid0(VALU_DEP_1) | instskip(NEXT) | instid1(SALU_CYCLE_1)
	s_and_b32 s7, vcc_lo, s7
	s_or_not1_b32 s7, s7, exec_lo
	s_branch .LBB2_641
.LBB2_650:                              ;   in Loop: Header=BB2_634 Depth=2
	s_or_b32 exec_lo, exec_lo, s19
	s_xor_b32 s7, s20, -1
	s_delay_alu instid0(SALU_CYCLE_1) | instskip(NEXT) | instid1(SALU_CYCLE_1)
	s_and_saveexec_b32 s19, s7
	s_xor_b32 s7, exec_lo, s19
	s_delay_alu instid0(SALU_CYCLE_1) | instskip(NEXT) | instid1(SALU_CYCLE_1)
	s_and_not1_saveexec_b32 s7, s7
	s_or_b32 exec_lo, exec_lo, s7
.LBB2_651:                              ;   in Loop: Header=BB2_634 Depth=2
	s_delay_alu instid0(SALU_CYCLE_1)
	s_or_b32 exec_lo, exec_lo, s8
.LBB2_652:                              ;   in Loop: Header=BB2_634 Depth=2
	s_delay_alu instid0(SALU_CYCLE_1) | instskip(SKIP_4) | instid1(VALU_DEP_1)
	s_or_b32 exec_lo, exec_lo, s18
	v_lshlrev_b32_e32 v18, 3, v85
	s_mov_b32 s7, 0
	s_mov_b32 s18, exec_lo
                                        ; implicit-def: $sgpr8
	s_waitcnt vmcnt(0) lgkmcnt(0)
	v_alignbit_b32 v81, v133, v96, v18
	s_delay_alu instid0(VALU_DEP_1) | instskip(NEXT) | instid1(VALU_DEP_1)
	v_and_b32_e32 v82, 0xff, v81
	v_cmpx_lt_i16_e32 0x7f, v82
	s_xor_b32 s18, exec_lo, s18
	s_cbranch_execnz .LBB2_894
; %bb.653:                              ;   in Loop: Header=BB2_634 Depth=2
	s_or_saveexec_b32 s18, s18
	v_mov_b32_e32 v20, s8
	s_xor_b32 exec_lo, exec_lo, s18
	s_cbranch_execnz .LBB2_897
.LBB2_654:                              ;   in Loop: Header=BB2_634 Depth=2
	s_or_b32 exec_lo, exec_lo, s18
	s_and_saveexec_b32 s8, s7
	s_cbranch_execz .LBB2_656
.LBB2_655:                              ;   in Loop: Header=BB2_634 Depth=2
	v_and_b32_e32 v20, 7, v81
	v_bfe_u32 v97, v81, 3, 4
	v_lshlrev_b32_e32 v134, 24, v81
	s_delay_alu instid0(VALU_DEP_3) | instskip(NEXT) | instid1(VALU_DEP_3)
	v_clz_i32_u32_e32 v82, v20
	v_cmp_eq_u32_e32 vcc_lo, 0, v97
	s_delay_alu instid0(VALU_DEP_2) | instskip(NEXT) | instid1(VALU_DEP_1)
	v_min_u32_e32 v82, 32, v82
	v_subrev_nc_u32_e32 v96, 28, v82
	v_sub_nc_u32_e32 v82, 29, v82
	s_delay_alu instid0(VALU_DEP_2) | instskip(NEXT) | instid1(VALU_DEP_2)
	v_lshlrev_b32_e32 v96, v96, v81
	v_cndmask_b32_e32 v82, v97, v82, vcc_lo
	s_delay_alu instid0(VALU_DEP_2) | instskip(NEXT) | instid1(VALU_DEP_2)
	v_and_b32_e32 v96, 7, v96
	v_lshl_add_u32 v82, v82, 23, 0x3b800000
	s_delay_alu instid0(VALU_DEP_2) | instskip(SKIP_1) | instid1(VALU_DEP_2)
	v_cndmask_b32_e32 v20, v20, v96, vcc_lo
	v_and_b32_e32 v96, 0x80000000, v134
	v_lshlrev_b32_e32 v20, 20, v20
	s_delay_alu instid0(VALU_DEP_1)
	v_or3_b32 v20, v96, v82, v20
.LBB2_656:                              ;   in Loop: Header=BB2_634 Depth=2
	s_or_b32 exec_lo, exec_lo, s8
	s_delay_alu instid0(VALU_DEP_1) | instskip(NEXT) | instid1(VALU_DEP_1)
	v_mul_f32_e32 v82, v0, v20
	v_and_b32_e32 v20, 0x7f800000, v82
	s_delay_alu instid0(VALU_DEP_1)
	v_cmp_ne_u32_e32 vcc_lo, 0x7f800000, v20
	v_mov_b32_e32 v20, 0x80
	s_and_saveexec_b32 s8, vcc_lo
	s_cbranch_execz .LBB2_664
; %bb.657:                              ;   in Loop: Header=BB2_634 Depth=2
	v_mov_b32_e32 v20, 0
	s_mov_b32 s18, exec_lo
	v_cmpx_ne_u32_e32 0, v82
	s_cbranch_execz .LBB2_663
; %bb.658:                              ;   in Loop: Header=BB2_634 Depth=2
	v_bfe_u32 v20, v82, 23, 8
	s_delay_alu instid0(VALU_DEP_1) | instskip(SKIP_1) | instid1(VALU_DEP_2)
	v_sub_nc_u32_e32 v97, 0x78, v20
	v_cmp_gt_u32_e32 vcc_lo, 0x79, v20
	v_dual_cndmask_b32 v97, 0, v97 :: v_dual_and_b32 v96, 0x7fffff, v82
	s_delay_alu instid0(VALU_DEP_1) | instskip(SKIP_2) | instid1(VALU_DEP_4)
	v_or_b32_e32 v134, 0x800000, v96
	v_cmp_eq_u32_e32 vcc_lo, 0, v20
	v_add_nc_u32_e32 v20, 0xffffff89, v20
	v_cndmask_b32_e64 v97, v97, 0x77, vcc_lo
	s_delay_alu instid0(VALU_DEP_4) | instskip(NEXT) | instid1(VALU_DEP_3)
	v_cndmask_b32_e32 v96, v134, v96, vcc_lo
	v_cndmask_b32_e64 v20, v20, 0xffffff8a, vcc_lo
	s_delay_alu instid0(VALU_DEP_3) | instskip(NEXT) | instid1(VALU_DEP_3)
	v_lshl_add_u32 v134, 0x100000, v97, -1
	v_lshrrev_b32_e32 v135, v97, v96
	v_lshlrev_b32_e64 v145, v97, 0x80000
	s_delay_alu instid0(VALU_DEP_4) | instskip(NEXT) | instid1(VALU_DEP_4)
	v_add_nc_u32_e32 v97, v97, v20
	v_and_b32_e32 v96, v134, v96
	s_delay_alu instid0(VALU_DEP_4) | instskip(NEXT) | instid1(VALU_DEP_2)
	v_bfe_u32 v144, v135, 20, 1
	v_cmp_eq_u32_e64 s7, v96, v145
	s_delay_alu instid0(VALU_DEP_2) | instskip(NEXT) | instid1(VALU_DEP_1)
	v_add_nc_u32_e32 v134, -1, v144
	v_cndmask_b32_e64 v96, 0, v134, s7
	v_lshrrev_b32_e32 v134, 23, v135
	s_mov_b32 s7, exec_lo
	s_delay_alu instid0(VALU_DEP_2) | instskip(NEXT) | instid1(VALU_DEP_2)
	v_add_nc_u32_e32 v96, v96, v135
	v_xor_b32_e32 v134, 1, v134
	s_delay_alu instid0(VALU_DEP_2) | instskip(NEXT) | instid1(VALU_DEP_1)
	v_and_b32_e32 v20, 0xfffff, v96
	v_add_nc_u32_e32 v96, v20, v135
                                        ; implicit-def: $vgpr20
	s_delay_alu instid0(VALU_DEP_3)
	v_cmpx_ne_u32_e64 v97, v134
	s_xor_b32 s7, exec_lo, s7
; %bb.659:                              ;   in Loop: Header=BB2_634 Depth=2
	s_delay_alu instid0(VALU_DEP_2) | instskip(SKIP_2) | instid1(VALU_DEP_2)
	v_cmp_lt_u32_e32 vcc_lo, 0xffffff, v96
	v_sub_nc_u32_e32 v20, v97, v134
	v_cndmask_b32_e64 v97, 0, 1, vcc_lo
	v_add_co_ci_u32_e32 v20, vcc_lo, 0, v20, vcc_lo
	s_delay_alu instid0(VALU_DEP_2)
	v_lshrrev_b32_e32 v96, v97, v96
; %bb.660:                              ;   in Loop: Header=BB2_634 Depth=2
	s_and_not1_saveexec_b32 s7, s7
; %bb.661:                              ;   in Loop: Header=BB2_634 Depth=2
	s_delay_alu instid0(VALU_DEP_1)
	v_bfe_u32 v20, v96, 23, 1
; %bb.662:                              ;   in Loop: Header=BB2_634 Depth=2
	s_or_b32 exec_lo, exec_lo, s7
	v_lshrrev_b32_e32 v96, 20, v96
	s_delay_alu instid0(VALU_DEP_2) | instskip(SKIP_2) | instid1(VALU_DEP_4)
	v_cmp_gt_i32_e32 vcc_lo, 16, v20
	v_lshrrev_b32_e32 v82, 24, v82
	v_min_i32_e32 v97, 15, v20
	v_cndmask_b32_e32 v96, 7, v96, vcc_lo
	s_delay_alu instid0(VALU_DEP_3) | instskip(NEXT) | instid1(VALU_DEP_3)
	v_and_b32_e32 v82, 0x80, v82
	v_lshlrev_b32_e32 v97, 3, v97
	s_delay_alu instid0(VALU_DEP_3) | instskip(SKIP_1) | instid1(VALU_DEP_2)
	v_and_b32_e32 v134, 7, v96
	v_or_b32_e32 v20, v20, v96
	v_or3_b32 v82, v97, v82, v134
	s_delay_alu instid0(VALU_DEP_2) | instskip(NEXT) | instid1(VALU_DEP_2)
	v_cmp_ne_u32_e32 vcc_lo, 0, v20
	v_cndmask_b32_e32 v20, 0, v82, vcc_lo
.LBB2_663:                              ;   in Loop: Header=BB2_634 Depth=2
	s_or_b32 exec_lo, exec_lo, s18
.LBB2_664:                              ;   in Loop: Header=BB2_634 Depth=2
	s_delay_alu instid0(SALU_CYCLE_1) | instskip(SKIP_3) | instid1(VALU_DEP_1)
	s_or_b32 exec_lo, exec_lo, s8
	v_lshrrev_b16 v82, 8, v81
	s_mov_b32 s7, 0
	s_mov_b32 s18, exec_lo
                                        ; implicit-def: $sgpr8
	v_cmpx_lt_i16_e32 0x7f, v82
	s_xor_b32 s18, exec_lo, s18
	s_cbranch_execnz .LBB2_898
; %bb.665:                              ;   in Loop: Header=BB2_634 Depth=2
	s_or_saveexec_b32 s18, s18
	v_mov_b32_e32 v96, s8
	s_xor_b32 exec_lo, exec_lo, s18
	s_cbranch_execnz .LBB2_901
.LBB2_666:                              ;   in Loop: Header=BB2_634 Depth=2
	s_or_b32 exec_lo, exec_lo, s18
	s_and_saveexec_b32 s8, s7
	s_cbranch_execz .LBB2_668
.LBB2_667:                              ;   in Loop: Header=BB2_634 Depth=2
	v_and_b32_e32 v96, 0xffff, v82
	v_lshlrev_b32_e32 v82, 24, v82
	s_delay_alu instid0(VALU_DEP_2) | instskip(NEXT) | instid1(VALU_DEP_2)
	v_and_b32_e32 v97, 7, v96
	v_and_b32_e32 v82, 0x80000000, v82
	s_delay_alu instid0(VALU_DEP_2) | instskip(NEXT) | instid1(VALU_DEP_1)
	v_clz_i32_u32_e32 v134, v97
	v_min_u32_e32 v134, 32, v134
	s_delay_alu instid0(VALU_DEP_1) | instskip(SKIP_1) | instid1(VALU_DEP_2)
	v_subrev_nc_u32_e32 v135, 28, v134
	v_sub_nc_u32_e32 v134, 29, v134
	v_lshlrev_b32_e32 v135, v135, v96
	v_bfe_u32 v96, v96, 3, 4
	s_delay_alu instid0(VALU_DEP_2) | instskip(NEXT) | instid1(VALU_DEP_2)
	v_and_b32_e32 v135, 7, v135
	v_cmp_eq_u32_e32 vcc_lo, 0, v96
	s_delay_alu instid0(VALU_DEP_2) | instskip(NEXT) | instid1(VALU_DEP_1)
	v_dual_cndmask_b32 v96, v96, v134 :: v_dual_cndmask_b32 v97, v97, v135
	v_lshl_add_u32 v96, v96, 23, 0x3b800000
	s_delay_alu instid0(VALU_DEP_2) | instskip(NEXT) | instid1(VALU_DEP_1)
	v_lshlrev_b32_e32 v97, 20, v97
	v_or3_b32 v96, v82, v96, v97
.LBB2_668:                              ;   in Loop: Header=BB2_634 Depth=2
	s_or_b32 exec_lo, exec_lo, s8
	s_delay_alu instid0(VALU_DEP_1) | instskip(NEXT) | instid1(VALU_DEP_1)
	v_mul_f32_e32 v96, v0, v96
	v_and_b32_e32 v82, 0x7f800000, v96
	s_delay_alu instid0(VALU_DEP_1)
	v_cmp_ne_u32_e32 vcc_lo, 0x7f800000, v82
	v_mov_b32_e32 v82, 0x80
	s_and_saveexec_b32 s8, vcc_lo
	s_cbranch_execz .LBB2_676
; %bb.669:                              ;   in Loop: Header=BB2_634 Depth=2
	v_mov_b32_e32 v82, 0
	s_mov_b32 s18, exec_lo
	v_cmpx_ne_u32_e32 0, v96
	s_cbranch_execz .LBB2_675
; %bb.670:                              ;   in Loop: Header=BB2_634 Depth=2
	v_bfe_u32 v82, v96, 23, 8
	s_delay_alu instid0(VALU_DEP_1) | instskip(SKIP_1) | instid1(VALU_DEP_2)
	v_sub_nc_u32_e32 v134, 0x78, v82
	v_cmp_gt_u32_e32 vcc_lo, 0x79, v82
	v_dual_cndmask_b32 v134, 0, v134 :: v_dual_and_b32 v97, 0x7fffff, v96
	s_delay_alu instid0(VALU_DEP_1) | instskip(SKIP_2) | instid1(VALU_DEP_4)
	v_or_b32_e32 v135, 0x800000, v97
	v_cmp_eq_u32_e32 vcc_lo, 0, v82
	v_add_nc_u32_e32 v82, 0xffffff89, v82
	v_cndmask_b32_e64 v134, v134, 0x77, vcc_lo
	s_delay_alu instid0(VALU_DEP_4) | instskip(NEXT) | instid1(VALU_DEP_3)
	v_cndmask_b32_e32 v97, v135, v97, vcc_lo
	v_cndmask_b32_e64 v82, v82, 0xffffff8a, vcc_lo
	s_delay_alu instid0(VALU_DEP_3) | instskip(NEXT) | instid1(VALU_DEP_3)
	v_lshl_add_u32 v135, 0x100000, v134, -1
	v_lshrrev_b32_e32 v144, v134, v97
	v_lshlrev_b32_e64 v146, v134, 0x80000
	s_delay_alu instid0(VALU_DEP_4) | instskip(NEXT) | instid1(VALU_DEP_4)
	v_add_nc_u32_e32 v134, v134, v82
	v_and_b32_e32 v97, v135, v97
	s_delay_alu instid0(VALU_DEP_4) | instskip(NEXT) | instid1(VALU_DEP_2)
	v_bfe_u32 v145, v144, 20, 1
	v_cmp_eq_u32_e64 s7, v97, v146
	s_delay_alu instid0(VALU_DEP_2) | instskip(NEXT) | instid1(VALU_DEP_1)
	v_add_nc_u32_e32 v135, -1, v145
	v_cndmask_b32_e64 v97, 0, v135, s7
	v_lshrrev_b32_e32 v135, 23, v144
	s_mov_b32 s7, exec_lo
	s_delay_alu instid0(VALU_DEP_2) | instskip(NEXT) | instid1(VALU_DEP_2)
	v_add_nc_u32_e32 v97, v97, v144
	v_xor_b32_e32 v135, 1, v135
	s_delay_alu instid0(VALU_DEP_2) | instskip(NEXT) | instid1(VALU_DEP_1)
	v_and_b32_e32 v82, 0xfffff, v97
	v_add_nc_u32_e32 v97, v82, v144
                                        ; implicit-def: $vgpr82
	s_delay_alu instid0(VALU_DEP_3)
	v_cmpx_ne_u32_e64 v134, v135
	s_xor_b32 s7, exec_lo, s7
; %bb.671:                              ;   in Loop: Header=BB2_634 Depth=2
	s_delay_alu instid0(VALU_DEP_2) | instskip(SKIP_2) | instid1(VALU_DEP_2)
	v_cmp_lt_u32_e32 vcc_lo, 0xffffff, v97
	v_sub_nc_u32_e32 v82, v134, v135
	v_cndmask_b32_e64 v134, 0, 1, vcc_lo
	v_add_co_ci_u32_e32 v82, vcc_lo, 0, v82, vcc_lo
	s_delay_alu instid0(VALU_DEP_2)
	v_lshrrev_b32_e32 v97, v134, v97
; %bb.672:                              ;   in Loop: Header=BB2_634 Depth=2
	s_and_not1_saveexec_b32 s7, s7
; %bb.673:                              ;   in Loop: Header=BB2_634 Depth=2
	s_delay_alu instid0(VALU_DEP_1)
	v_bfe_u32 v82, v97, 23, 1
; %bb.674:                              ;   in Loop: Header=BB2_634 Depth=2
	s_or_b32 exec_lo, exec_lo, s7
	v_lshrrev_b32_e32 v97, 20, v97
	s_delay_alu instid0(VALU_DEP_2) | instskip(SKIP_2) | instid1(VALU_DEP_2)
	v_cmp_gt_i32_e32 vcc_lo, 16, v82
	v_lshrrev_b32_e32 v96, 24, v96
	v_min_i32_e32 v134, 15, v82
	v_dual_cndmask_b32 v97, 7, v97 :: v_dual_and_b32 v96, 0x80, v96
	s_delay_alu instid0(VALU_DEP_2) | instskip(NEXT) | instid1(VALU_DEP_2)
	v_lshlrev_b32_e32 v134, 3, v134
	v_or_b32_e32 v82, v82, v97
	s_delay_alu instid0(VALU_DEP_1) | instskip(SKIP_1) | instid1(VALU_DEP_1)
	v_cmp_ne_u32_e32 vcc_lo, 0, v82
	v_and_b32_e32 v135, 7, v97
	v_or3_b32 v96, v134, v96, v135
	s_delay_alu instid0(VALU_DEP_1)
	v_cndmask_b32_e32 v82, 0, v96, vcc_lo
.LBB2_675:                              ;   in Loop: Header=BB2_634 Depth=2
	s_or_b32 exec_lo, exec_lo, s18
.LBB2_676:                              ;   in Loop: Header=BB2_634 Depth=2
	s_delay_alu instid0(SALU_CYCLE_1) | instskip(SKIP_3) | instid1(VALU_DEP_1)
	s_or_b32 exec_lo, exec_lo, s8
	v_lshrrev_b32_e32 v96, 16, v81
	s_mov_b32 s7, 0
	s_mov_b32 s18, exec_lo
                                        ; implicit-def: $sgpr8
	v_and_b32_e32 v134, 0xff, v96
	s_delay_alu instid0(VALU_DEP_1)
	v_cmpx_lt_i16_e64 0x7f, v134
	s_xor_b32 s18, exec_lo, s18
	s_cbranch_execnz .LBB2_902
; %bb.677:                              ;   in Loop: Header=BB2_634 Depth=2
	s_or_saveexec_b32 s18, s18
	v_mov_b32_e32 v97, s8
	s_xor_b32 exec_lo, exec_lo, s18
	s_cbranch_execnz .LBB2_905
.LBB2_678:                              ;   in Loop: Header=BB2_634 Depth=2
	s_or_b32 exec_lo, exec_lo, s18
	s_and_saveexec_b32 s8, s7
	s_cbranch_execz .LBB2_680
.LBB2_679:                              ;   in Loop: Header=BB2_634 Depth=2
	v_bfe_u32 v97, v81, 16, 3
	v_lshlrev_b32_e32 v144, 8, v81
	s_delay_alu instid0(VALU_DEP_2) | instskip(NEXT) | instid1(VALU_DEP_1)
	v_clz_i32_u32_e32 v134, v97
	v_min_u32_e32 v134, 32, v134
	s_delay_alu instid0(VALU_DEP_1) | instskip(SKIP_1) | instid1(VALU_DEP_2)
	v_subrev_nc_u32_e32 v135, 28, v134
	v_sub_nc_u32_e32 v134, 29, v134
	v_lshlrev_b32_e32 v96, v135, v96
	v_bfe_u32 v135, v81, 19, 4
	s_delay_alu instid0(VALU_DEP_2) | instskip(NEXT) | instid1(VALU_DEP_2)
	v_and_b32_e32 v96, 7, v96
	v_cmp_eq_u32_e32 vcc_lo, 0, v135
	v_cndmask_b32_e32 v134, v135, v134, vcc_lo
	s_delay_alu instid0(VALU_DEP_3) | instskip(SKIP_1) | instid1(VALU_DEP_3)
	v_cndmask_b32_e32 v96, v97, v96, vcc_lo
	v_and_b32_e32 v97, 0x80000000, v144
	v_lshl_add_u32 v134, v134, 23, 0x3b800000
	s_delay_alu instid0(VALU_DEP_3) | instskip(NEXT) | instid1(VALU_DEP_1)
	v_lshlrev_b32_e32 v96, 20, v96
	v_or3_b32 v97, v97, v134, v96
.LBB2_680:                              ;   in Loop: Header=BB2_634 Depth=2
	s_or_b32 exec_lo, exec_lo, s8
	s_delay_alu instid0(VALU_DEP_1) | instskip(NEXT) | instid1(VALU_DEP_1)
	v_mul_f32_e32 v96, v0, v97
	v_and_b32_e32 v97, 0x7f800000, v96
	s_delay_alu instid0(VALU_DEP_1)
	v_cmp_ne_u32_e32 vcc_lo, 0x7f800000, v97
	v_mov_b32_e32 v97, 0x80
	s_and_saveexec_b32 s8, vcc_lo
	s_cbranch_execz .LBB2_688
; %bb.681:                              ;   in Loop: Header=BB2_634 Depth=2
	v_mov_b32_e32 v97, 0
	s_mov_b32 s18, exec_lo
	v_cmpx_ne_u32_e32 0, v96
	s_cbranch_execz .LBB2_687
; %bb.682:                              ;   in Loop: Header=BB2_634 Depth=2
	v_bfe_u32 v97, v96, 23, 8
	s_delay_alu instid0(VALU_DEP_1) | instskip(SKIP_1) | instid1(VALU_DEP_2)
	v_sub_nc_u32_e32 v135, 0x78, v97
	v_cmp_gt_u32_e32 vcc_lo, 0x79, v97
	v_dual_cndmask_b32 v135, 0, v135 :: v_dual_and_b32 v134, 0x7fffff, v96
	s_delay_alu instid0(VALU_DEP_1) | instskip(SKIP_2) | instid1(VALU_DEP_4)
	v_or_b32_e32 v144, 0x800000, v134
	v_cmp_eq_u32_e32 vcc_lo, 0, v97
	v_add_nc_u32_e32 v97, 0xffffff89, v97
	v_cndmask_b32_e64 v135, v135, 0x77, vcc_lo
	s_delay_alu instid0(VALU_DEP_4) | instskip(NEXT) | instid1(VALU_DEP_3)
	v_cndmask_b32_e32 v134, v144, v134, vcc_lo
	v_cndmask_b32_e64 v97, v97, 0xffffff8a, vcc_lo
	s_delay_alu instid0(VALU_DEP_3) | instskip(NEXT) | instid1(VALU_DEP_3)
	v_lshl_add_u32 v144, 0x100000, v135, -1
	v_lshrrev_b32_e32 v145, v135, v134
	v_lshlrev_b32_e64 v147, v135, 0x80000
	s_delay_alu instid0(VALU_DEP_4) | instskip(NEXT) | instid1(VALU_DEP_4)
	v_add_nc_u32_e32 v135, v135, v97
	v_and_b32_e32 v134, v144, v134
	s_delay_alu instid0(VALU_DEP_4) | instskip(NEXT) | instid1(VALU_DEP_2)
	v_bfe_u32 v146, v145, 20, 1
	v_cmp_eq_u32_e64 s7, v134, v147
	s_delay_alu instid0(VALU_DEP_2) | instskip(NEXT) | instid1(VALU_DEP_1)
	v_add_nc_u32_e32 v144, -1, v146
	v_cndmask_b32_e64 v134, 0, v144, s7
	v_lshrrev_b32_e32 v144, 23, v145
	s_mov_b32 s7, exec_lo
	s_delay_alu instid0(VALU_DEP_2) | instskip(NEXT) | instid1(VALU_DEP_2)
	v_add_nc_u32_e32 v134, v134, v145
	v_xor_b32_e32 v144, 1, v144
	s_delay_alu instid0(VALU_DEP_2) | instskip(NEXT) | instid1(VALU_DEP_1)
	v_and_b32_e32 v97, 0xfffff, v134
	v_add_nc_u32_e32 v134, v97, v145
                                        ; implicit-def: $vgpr97
	s_delay_alu instid0(VALU_DEP_3)
	v_cmpx_ne_u32_e64 v135, v144
	s_xor_b32 s7, exec_lo, s7
; %bb.683:                              ;   in Loop: Header=BB2_634 Depth=2
	s_delay_alu instid0(VALU_DEP_2) | instskip(SKIP_2) | instid1(VALU_DEP_2)
	v_cmp_lt_u32_e32 vcc_lo, 0xffffff, v134
	v_sub_nc_u32_e32 v97, v135, v144
	v_cndmask_b32_e64 v135, 0, 1, vcc_lo
	v_add_co_ci_u32_e32 v97, vcc_lo, 0, v97, vcc_lo
	s_delay_alu instid0(VALU_DEP_2)
	v_lshrrev_b32_e32 v134, v135, v134
; %bb.684:                              ;   in Loop: Header=BB2_634 Depth=2
	s_and_not1_saveexec_b32 s7, s7
; %bb.685:                              ;   in Loop: Header=BB2_634 Depth=2
	s_delay_alu instid0(VALU_DEP_1)
	v_bfe_u32 v97, v134, 23, 1
; %bb.686:                              ;   in Loop: Header=BB2_634 Depth=2
	s_or_b32 exec_lo, exec_lo, s7
	v_lshrrev_b32_e32 v134, 20, v134
	s_delay_alu instid0(VALU_DEP_2) | instskip(SKIP_2) | instid1(VALU_DEP_2)
	v_cmp_gt_i32_e32 vcc_lo, 16, v97
	v_min_i32_e32 v135, 15, v97
	v_lshrrev_b32_e32 v96, 24, v96
	v_dual_cndmask_b32 v134, 7, v134 :: v_dual_lshlrev_b32 v135, 3, v135
	s_delay_alu instid0(VALU_DEP_2) | instskip(NEXT) | instid1(VALU_DEP_2)
	v_and_b32_e32 v96, 0x80, v96
	v_or_b32_e32 v97, v97, v134
	s_delay_alu instid0(VALU_DEP_1) | instskip(SKIP_1) | instid1(VALU_DEP_1)
	v_cmp_ne_u32_e32 vcc_lo, 0, v97
	v_and_b32_e32 v144, 7, v134
	v_or3_b32 v96, v135, v96, v144
	s_delay_alu instid0(VALU_DEP_1)
	v_cndmask_b32_e32 v97, 0, v96, vcc_lo
.LBB2_687:                              ;   in Loop: Header=BB2_634 Depth=2
	s_or_b32 exec_lo, exec_lo, s18
.LBB2_688:                              ;   in Loop: Header=BB2_634 Depth=2
	s_delay_alu instid0(SALU_CYCLE_1) | instskip(SKIP_3) | instid1(VALU_DEP_1)
	s_or_b32 exec_lo, exec_lo, s8
	v_lshrrev_b32_e32 v96, 24, v81
	s_mov_b32 s7, 0
	s_mov_b32 s18, exec_lo
                                        ; implicit-def: $sgpr8
	v_cmpx_lt_i16_e32 0x7f, v96
	s_xor_b32 s18, exec_lo, s18
	s_cbranch_execnz .LBB2_906
; %bb.689:                              ;   in Loop: Header=BB2_634 Depth=2
	s_or_saveexec_b32 s18, s18
	v_mov_b32_e32 v134, s8
	s_xor_b32 exec_lo, exec_lo, s18
	s_cbranch_execnz .LBB2_909
.LBB2_690:                              ;   in Loop: Header=BB2_634 Depth=2
	s_or_b32 exec_lo, exec_lo, s18
	s_and_saveexec_b32 s8, s7
	s_cbranch_execz .LBB2_692
.LBB2_691:                              ;   in Loop: Header=BB2_634 Depth=2
	v_bfe_u32 v134, v81, 24, 3
	s_delay_alu instid0(VALU_DEP_1) | instskip(NEXT) | instid1(VALU_DEP_1)
	v_clz_i32_u32_e32 v135, v134
	v_min_u32_e32 v135, 32, v135
	s_delay_alu instid0(VALU_DEP_1) | instskip(SKIP_1) | instid1(VALU_DEP_2)
	v_subrev_nc_u32_e32 v144, 28, v135
	v_sub_nc_u32_e32 v135, 29, v135
	v_lshlrev_b32_e32 v96, v144, v96
	v_bfe_u32 v144, v81, 27, 4
	v_and_b32_e32 v81, 0x80000000, v81
	s_delay_alu instid0(VALU_DEP_2) | instskip(NEXT) | instid1(VALU_DEP_4)
	v_cmp_eq_u32_e32 vcc_lo, 0, v144
	v_dual_cndmask_b32 v135, v144, v135 :: v_dual_and_b32 v96, 7, v96
	s_delay_alu instid0(VALU_DEP_1) | instskip(NEXT) | instid1(VALU_DEP_2)
	v_cndmask_b32_e32 v96, v134, v96, vcc_lo
	v_lshl_add_u32 v134, v135, 23, 0x3b800000
	s_delay_alu instid0(VALU_DEP_2) | instskip(NEXT) | instid1(VALU_DEP_1)
	v_lshlrev_b32_e32 v96, 20, v96
	v_or3_b32 v134, v81, v134, v96
.LBB2_692:                              ;   in Loop: Header=BB2_634 Depth=2
	s_or_b32 exec_lo, exec_lo, s8
	s_delay_alu instid0(VALU_DEP_1) | instskip(NEXT) | instid1(VALU_DEP_1)
	v_mul_f32_e32 v81, v0, v134
	v_and_b32_e32 v96, 0x7f800000, v81
	s_delay_alu instid0(VALU_DEP_1)
	v_cmp_ne_u32_e32 vcc_lo, 0x7f800000, v96
	v_mov_b32_e32 v96, 0x80
	s_and_saveexec_b32 s8, vcc_lo
	s_cbranch_execz .LBB2_700
; %bb.693:                              ;   in Loop: Header=BB2_634 Depth=2
	v_mov_b32_e32 v96, 0
	s_mov_b32 s18, exec_lo
	v_cmpx_ne_u32_e32 0, v81
	s_cbranch_execz .LBB2_699
; %bb.694:                              ;   in Loop: Header=BB2_634 Depth=2
	v_bfe_u32 v96, v81, 23, 8
	s_delay_alu instid0(VALU_DEP_1) | instskip(SKIP_1) | instid1(VALU_DEP_2)
	v_sub_nc_u32_e32 v135, 0x78, v96
	v_cmp_gt_u32_e32 vcc_lo, 0x79, v96
	v_dual_cndmask_b32 v135, 0, v135 :: v_dual_and_b32 v134, 0x7fffff, v81
	s_delay_alu instid0(VALU_DEP_1) | instskip(SKIP_2) | instid1(VALU_DEP_4)
	v_or_b32_e32 v144, 0x800000, v134
	v_cmp_eq_u32_e32 vcc_lo, 0, v96
	v_add_nc_u32_e32 v96, 0xffffff89, v96
	v_cndmask_b32_e64 v135, v135, 0x77, vcc_lo
	s_delay_alu instid0(VALU_DEP_2) | instskip(SKIP_1) | instid1(VALU_DEP_3)
	v_cndmask_b32_e64 v96, v96, 0xffffff8a, vcc_lo
	v_cndmask_b32_e32 v134, v144, v134, vcc_lo
	v_lshl_add_u32 v144, 0x100000, v135, -1
	v_lshlrev_b32_e64 v147, v135, 0x80000
	s_delay_alu instid0(VALU_DEP_3) | instskip(SKIP_1) | instid1(VALU_DEP_4)
	v_lshrrev_b32_e32 v145, v135, v134
	v_add_nc_u32_e32 v135, v135, v96
	v_and_b32_e32 v134, v144, v134
	s_delay_alu instid0(VALU_DEP_3) | instskip(NEXT) | instid1(VALU_DEP_2)
	v_bfe_u32 v146, v145, 20, 1
	v_cmp_eq_u32_e64 s7, v134, v147
	s_delay_alu instid0(VALU_DEP_2) | instskip(NEXT) | instid1(VALU_DEP_1)
	v_add_nc_u32_e32 v144, -1, v146
	v_cndmask_b32_e64 v134, 0, v144, s7
	v_lshrrev_b32_e32 v144, 23, v145
	s_mov_b32 s7, exec_lo
	s_delay_alu instid0(VALU_DEP_2) | instskip(NEXT) | instid1(VALU_DEP_2)
	v_add_nc_u32_e32 v134, v134, v145
	v_xor_b32_e32 v144, 1, v144
	s_delay_alu instid0(VALU_DEP_2) | instskip(NEXT) | instid1(VALU_DEP_1)
	v_and_b32_e32 v96, 0xfffff, v134
	v_add_nc_u32_e32 v134, v96, v145
                                        ; implicit-def: $vgpr96
	s_delay_alu instid0(VALU_DEP_3)
	v_cmpx_ne_u32_e64 v135, v144
	s_xor_b32 s7, exec_lo, s7
; %bb.695:                              ;   in Loop: Header=BB2_634 Depth=2
	s_delay_alu instid0(VALU_DEP_2) | instskip(SKIP_2) | instid1(VALU_DEP_2)
	v_cmp_lt_u32_e32 vcc_lo, 0xffffff, v134
	v_sub_nc_u32_e32 v96, v135, v144
	v_cndmask_b32_e64 v135, 0, 1, vcc_lo
	v_add_co_ci_u32_e32 v96, vcc_lo, 0, v96, vcc_lo
	s_delay_alu instid0(VALU_DEP_2)
	v_lshrrev_b32_e32 v134, v135, v134
; %bb.696:                              ;   in Loop: Header=BB2_634 Depth=2
	s_and_not1_saveexec_b32 s7, s7
; %bb.697:                              ;   in Loop: Header=BB2_634 Depth=2
	s_delay_alu instid0(VALU_DEP_1)
	v_bfe_u32 v96, v134, 23, 1
; %bb.698:                              ;   in Loop: Header=BB2_634 Depth=2
	s_or_b32 exec_lo, exec_lo, s7
	v_lshrrev_b32_e32 v134, 20, v134
	s_delay_alu instid0(VALU_DEP_2) | instskip(SKIP_2) | instid1(VALU_DEP_2)
	v_cmp_gt_i32_e32 vcc_lo, 16, v96
	v_lshrrev_b32_e32 v81, 24, v81
	v_min_i32_e32 v135, 15, v96
	v_dual_cndmask_b32 v134, 7, v134 :: v_dual_and_b32 v81, 0x80, v81
	s_delay_alu instid0(VALU_DEP_1) | instskip(SKIP_1) | instid1(VALU_DEP_2)
	v_or_b32_e32 v96, v96, v134
	v_and_b32_e32 v144, 7, v134
	v_cmp_ne_u32_e32 vcc_lo, 0, v96
	v_lshlrev_b32_e32 v135, 3, v135
	s_delay_alu instid0(VALU_DEP_1) | instskip(NEXT) | instid1(VALU_DEP_1)
	v_or3_b32 v81, v135, v81, v144
	v_cndmask_b32_e32 v96, 0, v81, vcc_lo
.LBB2_699:                              ;   in Loop: Header=BB2_634 Depth=2
	s_or_b32 exec_lo, exec_lo, s18
.LBB2_700:                              ;   in Loop: Header=BB2_634 Depth=2
	s_delay_alu instid0(SALU_CYCLE_1) | instskip(SKIP_3) | instid1(VALU_DEP_1)
	s_or_b32 exec_lo, exec_lo, s8
	v_alignbit_b32 v87, v87, v133, v18
	s_mov_b32 s7, 0
	s_mov_b32 s18, exec_lo
                                        ; implicit-def: $sgpr8
	v_and_b32_e32 v81, 0xff, v87
	s_delay_alu instid0(VALU_DEP_1)
	v_cmpx_lt_i16_e32 0x7f, v81
	s_xor_b32 s18, exec_lo, s18
	s_cbranch_execnz .LBB2_910
; %bb.701:                              ;   in Loop: Header=BB2_634 Depth=2
	s_or_saveexec_b32 s18, s18
	v_mov_b32_e32 v18, s8
	s_xor_b32 exec_lo, exec_lo, s18
	s_cbranch_execnz .LBB2_913
.LBB2_702:                              ;   in Loop: Header=BB2_634 Depth=2
	s_or_b32 exec_lo, exec_lo, s18
	s_and_saveexec_b32 s8, s7
	s_cbranch_execz .LBB2_704
.LBB2_703:                              ;   in Loop: Header=BB2_634 Depth=2
	v_bfe_u32 v134, v87, 3, 4
	s_delay_alu instid0(VALU_DEP_1) | instskip(SKIP_1) | instid1(VALU_DEP_1)
	v_cmp_eq_u32_e32 vcc_lo, 0, v134
	v_and_b32_e32 v18, 7, v87
	v_clz_i32_u32_e32 v81, v18
	s_delay_alu instid0(VALU_DEP_1) | instskip(NEXT) | instid1(VALU_DEP_1)
	v_min_u32_e32 v81, 32, v81
	v_subrev_nc_u32_e32 v133, 28, v81
	v_sub_nc_u32_e32 v81, 29, v81
	s_delay_alu instid0(VALU_DEP_2) | instskip(NEXT) | instid1(VALU_DEP_2)
	v_lshlrev_b32_e32 v133, v133, v87
	v_cndmask_b32_e32 v81, v134, v81, vcc_lo
	s_delay_alu instid0(VALU_DEP_2) | instskip(SKIP_1) | instid1(VALU_DEP_3)
	v_and_b32_e32 v133, 7, v133
	v_lshlrev_b32_e32 v135, 24, v87
	v_lshl_add_u32 v81, v81, 23, 0x3b800000
	s_delay_alu instid0(VALU_DEP_2) | instskip(NEXT) | instid1(VALU_DEP_1)
	v_dual_cndmask_b32 v18, v18, v133 :: v_dual_and_b32 v133, 0x80000000, v135
	v_lshlrev_b32_e32 v18, 20, v18
	s_delay_alu instid0(VALU_DEP_1)
	v_or3_b32 v18, v133, v81, v18
.LBB2_704:                              ;   in Loop: Header=BB2_634 Depth=2
	s_or_b32 exec_lo, exec_lo, s8
	s_delay_alu instid0(VALU_DEP_1) | instskip(NEXT) | instid1(VALU_DEP_1)
	v_mul_f32_e32 v18, v0, v18
	v_and_b32_e32 v81, 0x7f800000, v18
	s_delay_alu instid0(VALU_DEP_1)
	v_cmp_ne_u32_e32 vcc_lo, 0x7f800000, v81
	v_mov_b32_e32 v81, 0x80
	s_and_saveexec_b32 s8, vcc_lo
	s_cbranch_execz .LBB2_712
; %bb.705:                              ;   in Loop: Header=BB2_634 Depth=2
	v_mov_b32_e32 v81, 0
	s_mov_b32 s18, exec_lo
	v_cmpx_ne_u32_e32 0, v18
	s_cbranch_execz .LBB2_711
; %bb.706:                              ;   in Loop: Header=BB2_634 Depth=2
	v_bfe_u32 v81, v18, 23, 8
	v_and_b32_e32 v133, 0x7fffff, v18
	s_delay_alu instid0(VALU_DEP_2) | instskip(SKIP_1) | instid1(VALU_DEP_3)
	v_sub_nc_u32_e32 v134, 0x78, v81
	v_cmp_gt_u32_e32 vcc_lo, 0x79, v81
	v_or_b32_e32 v135, 0x800000, v133
	s_delay_alu instid0(VALU_DEP_3) | instskip(SKIP_2) | instid1(VALU_DEP_4)
	v_cndmask_b32_e32 v134, 0, v134, vcc_lo
	v_cmp_eq_u32_e32 vcc_lo, 0, v81
	v_add_nc_u32_e32 v81, 0xffffff89, v81
	v_cndmask_b32_e32 v133, v135, v133, vcc_lo
	s_delay_alu instid0(VALU_DEP_4) | instskip(NEXT) | instid1(VALU_DEP_3)
	v_cndmask_b32_e64 v134, v134, 0x77, vcc_lo
	v_cndmask_b32_e64 v81, v81, 0xffffff8a, vcc_lo
	s_delay_alu instid0(VALU_DEP_2) | instskip(SKIP_2) | instid1(VALU_DEP_4)
	v_lshrrev_b32_e32 v144, v134, v133
	v_lshl_add_u32 v135, 0x100000, v134, -1
	v_lshlrev_b32_e64 v146, v134, 0x80000
	v_add_nc_u32_e32 v134, v134, v81
	s_delay_alu instid0(VALU_DEP_4) | instskip(NEXT) | instid1(VALU_DEP_4)
	v_bfe_u32 v145, v144, 20, 1
	v_and_b32_e32 v133, v135, v133
	s_delay_alu instid0(VALU_DEP_2) | instskip(NEXT) | instid1(VALU_DEP_2)
	v_add_nc_u32_e32 v135, -1, v145
	v_cmp_eq_u32_e64 s7, v133, v146
	s_delay_alu instid0(VALU_DEP_1) | instskip(SKIP_2) | instid1(VALU_DEP_2)
	v_cndmask_b32_e64 v133, 0, v135, s7
	v_lshrrev_b32_e32 v135, 23, v144
	s_mov_b32 s7, exec_lo
	v_add_nc_u32_e32 v133, v133, v144
	s_delay_alu instid0(VALU_DEP_2) | instskip(NEXT) | instid1(VALU_DEP_2)
	v_xor_b32_e32 v135, 1, v135
	v_and_b32_e32 v81, 0xfffff, v133
	s_delay_alu instid0(VALU_DEP_1) | instskip(NEXT) | instid1(VALU_DEP_3)
	v_add_nc_u32_e32 v133, v81, v144
                                        ; implicit-def: $vgpr81
	v_cmpx_ne_u32_e64 v134, v135
	s_xor_b32 s7, exec_lo, s7
; %bb.707:                              ;   in Loop: Header=BB2_634 Depth=2
	s_delay_alu instid0(VALU_DEP_2) | instskip(SKIP_2) | instid1(VALU_DEP_2)
	v_cmp_lt_u32_e32 vcc_lo, 0xffffff, v133
	v_sub_nc_u32_e32 v81, v134, v135
	v_cndmask_b32_e64 v134, 0, 1, vcc_lo
	v_add_co_ci_u32_e32 v81, vcc_lo, 0, v81, vcc_lo
	s_delay_alu instid0(VALU_DEP_2)
	v_lshrrev_b32_e32 v133, v134, v133
; %bb.708:                              ;   in Loop: Header=BB2_634 Depth=2
	s_and_not1_saveexec_b32 s7, s7
; %bb.709:                              ;   in Loop: Header=BB2_634 Depth=2
	s_delay_alu instid0(VALU_DEP_1)
	v_bfe_u32 v81, v133, 23, 1
; %bb.710:                              ;   in Loop: Header=BB2_634 Depth=2
	s_or_b32 exec_lo, exec_lo, s7
	v_lshrrev_b32_e32 v133, 20, v133
	s_delay_alu instid0(VALU_DEP_2) | instskip(SKIP_2) | instid1(VALU_DEP_3)
	v_min_i32_e32 v134, 15, v81
	v_cmp_gt_i32_e32 vcc_lo, 16, v81
	v_lshrrev_b32_e32 v18, 24, v18
	v_dual_cndmask_b32 v133, 7, v133 :: v_dual_lshlrev_b32 v134, 3, v134
	s_delay_alu instid0(VALU_DEP_2) | instskip(NEXT) | instid1(VALU_DEP_2)
	v_and_b32_e32 v18, 0x80, v18
	v_and_b32_e32 v134, 0xf8, v134
	s_delay_alu instid0(VALU_DEP_3) | instskip(SKIP_1) | instid1(VALU_DEP_2)
	v_and_b32_e32 v135, 7, v133
	v_or_b32_e32 v81, v81, v133
	v_or3_b32 v18, v134, v18, v135
	s_delay_alu instid0(VALU_DEP_2) | instskip(NEXT) | instid1(VALU_DEP_2)
	v_cmp_ne_u32_e32 vcc_lo, 0, v81
	v_cndmask_b32_e32 v81, 0, v18, vcc_lo
.LBB2_711:                              ;   in Loop: Header=BB2_634 Depth=2
	s_or_b32 exec_lo, exec_lo, s18
.LBB2_712:                              ;   in Loop: Header=BB2_634 Depth=2
	s_delay_alu instid0(SALU_CYCLE_1) | instskip(SKIP_3) | instid1(VALU_DEP_1)
	s_or_b32 exec_lo, exec_lo, s8
	v_lshrrev_b16 v18, 8, v87
	s_mov_b32 s7, 0
	s_mov_b32 s18, exec_lo
                                        ; implicit-def: $sgpr8
	v_cmpx_lt_i16_e32 0x7f, v18
	s_xor_b32 s18, exec_lo, s18
	s_cbranch_execnz .LBB2_914
; %bb.713:                              ;   in Loop: Header=BB2_634 Depth=2
	s_or_saveexec_b32 s18, s18
	v_mov_b32_e32 v133, s8
	s_xor_b32 exec_lo, exec_lo, s18
	s_cbranch_execnz .LBB2_917
.LBB2_714:                              ;   in Loop: Header=BB2_634 Depth=2
	s_or_b32 exec_lo, exec_lo, s18
	s_and_saveexec_b32 s8, s7
	s_cbranch_execz .LBB2_716
.LBB2_715:                              ;   in Loop: Header=BB2_634 Depth=2
	v_and_b32_e32 v133, 0xffff, v18
	v_lshlrev_b32_e32 v18, 24, v18
	s_delay_alu instid0(VALU_DEP_2) | instskip(NEXT) | instid1(VALU_DEP_2)
	v_and_b32_e32 v134, 7, v133
	v_and_b32_e32 v18, 0x80000000, v18
	s_delay_alu instid0(VALU_DEP_2) | instskip(NEXT) | instid1(VALU_DEP_1)
	v_clz_i32_u32_e32 v135, v134
	v_min_u32_e32 v135, 32, v135
	s_delay_alu instid0(VALU_DEP_1) | instskip(SKIP_1) | instid1(VALU_DEP_2)
	v_subrev_nc_u32_e32 v144, 28, v135
	v_sub_nc_u32_e32 v135, 29, v135
	v_lshlrev_b32_e32 v144, v144, v133
	v_bfe_u32 v133, v133, 3, 4
	s_delay_alu instid0(VALU_DEP_2) | instskip(NEXT) | instid1(VALU_DEP_2)
	v_and_b32_e32 v144, 7, v144
	v_cmp_eq_u32_e32 vcc_lo, 0, v133
	s_delay_alu instid0(VALU_DEP_2) | instskip(NEXT) | instid1(VALU_DEP_1)
	v_dual_cndmask_b32 v133, v133, v135 :: v_dual_cndmask_b32 v134, v134, v144
	v_lshl_add_u32 v133, v133, 23, 0x3b800000
	s_delay_alu instid0(VALU_DEP_2) | instskip(NEXT) | instid1(VALU_DEP_1)
	v_lshlrev_b32_e32 v134, 20, v134
	v_or3_b32 v133, v18, v133, v134
.LBB2_716:                              ;   in Loop: Header=BB2_634 Depth=2
	s_or_b32 exec_lo, exec_lo, s8
	s_delay_alu instid0(VALU_DEP_1) | instskip(NEXT) | instid1(VALU_DEP_1)
	v_mul_f32_e32 v18, v0, v133
	v_and_b32_e32 v133, 0x7f800000, v18
	s_delay_alu instid0(VALU_DEP_1)
	v_cmp_ne_u32_e32 vcc_lo, 0x7f800000, v133
	v_mov_b32_e32 v133, 0x8000
	s_and_saveexec_b32 s8, vcc_lo
	s_cbranch_execz .LBB2_724
; %bb.717:                              ;   in Loop: Header=BB2_634 Depth=2
	v_mov_b32_e32 v133, 0
	s_mov_b32 s18, exec_lo
	v_cmpx_ne_u32_e32 0, v18
	s_cbranch_execz .LBB2_723
; %bb.718:                              ;   in Loop: Header=BB2_634 Depth=2
	v_bfe_u32 v133, v18, 23, 8
	s_delay_alu instid0(VALU_DEP_1) | instskip(SKIP_1) | instid1(VALU_DEP_2)
	v_sub_nc_u32_e32 v135, 0x78, v133
	v_cmp_gt_u32_e32 vcc_lo, 0x79, v133
	v_dual_cndmask_b32 v135, 0, v135 :: v_dual_and_b32 v134, 0x7fffff, v18
	s_delay_alu instid0(VALU_DEP_1) | instskip(SKIP_2) | instid1(VALU_DEP_4)
	v_or_b32_e32 v144, 0x800000, v134
	v_cmp_eq_u32_e32 vcc_lo, 0, v133
	v_add_nc_u32_e32 v133, 0xffffff89, v133
	v_cndmask_b32_e64 v135, v135, 0x77, vcc_lo
	s_delay_alu instid0(VALU_DEP_4) | instskip(NEXT) | instid1(VALU_DEP_3)
	v_cndmask_b32_e32 v134, v144, v134, vcc_lo
	v_cndmask_b32_e64 v133, v133, 0xffffff8a, vcc_lo
	s_delay_alu instid0(VALU_DEP_3) | instskip(NEXT) | instid1(VALU_DEP_3)
	v_lshl_add_u32 v144, 0x100000, v135, -1
	v_lshrrev_b32_e32 v145, v135, v134
	v_lshlrev_b32_e64 v147, v135, 0x80000
	s_delay_alu instid0(VALU_DEP_4) | instskip(NEXT) | instid1(VALU_DEP_4)
	v_add_nc_u32_e32 v135, v135, v133
	v_and_b32_e32 v134, v144, v134
	s_delay_alu instid0(VALU_DEP_4) | instskip(NEXT) | instid1(VALU_DEP_2)
	v_bfe_u32 v146, v145, 20, 1
	v_cmp_eq_u32_e64 s7, v134, v147
	s_delay_alu instid0(VALU_DEP_2) | instskip(NEXT) | instid1(VALU_DEP_1)
	v_add_nc_u32_e32 v144, -1, v146
	v_cndmask_b32_e64 v134, 0, v144, s7
	v_lshrrev_b32_e32 v144, 23, v145
	s_mov_b32 s7, exec_lo
	s_delay_alu instid0(VALU_DEP_2) | instskip(NEXT) | instid1(VALU_DEP_2)
	v_add_nc_u32_e32 v134, v134, v145
	v_xor_b32_e32 v144, 1, v144
	s_delay_alu instid0(VALU_DEP_2) | instskip(NEXT) | instid1(VALU_DEP_1)
	v_and_b32_e32 v133, 0xfffff, v134
	v_add_nc_u32_e32 v134, v133, v145
                                        ; implicit-def: $vgpr133
	s_delay_alu instid0(VALU_DEP_3)
	v_cmpx_ne_u32_e64 v135, v144
	s_xor_b32 s7, exec_lo, s7
; %bb.719:                              ;   in Loop: Header=BB2_634 Depth=2
	s_delay_alu instid0(VALU_DEP_2) | instskip(SKIP_2) | instid1(VALU_DEP_2)
	v_cmp_lt_u32_e32 vcc_lo, 0xffffff, v134
	v_sub_nc_u32_e32 v133, v135, v144
	v_cndmask_b32_e64 v135, 0, 1, vcc_lo
	v_add_co_ci_u32_e32 v133, vcc_lo, 0, v133, vcc_lo
	s_delay_alu instid0(VALU_DEP_2)
	v_lshrrev_b32_e32 v134, v135, v134
; %bb.720:                              ;   in Loop: Header=BB2_634 Depth=2
	s_and_not1_saveexec_b32 s7, s7
; %bb.721:                              ;   in Loop: Header=BB2_634 Depth=2
	s_delay_alu instid0(VALU_DEP_1)
	v_bfe_u32 v133, v134, 23, 1
; %bb.722:                              ;   in Loop: Header=BB2_634 Depth=2
	s_or_b32 exec_lo, exec_lo, s7
	v_lshrrev_b32_e32 v134, 20, v134
	s_delay_alu instid0(VALU_DEP_2) | instskip(SKIP_2) | instid1(VALU_DEP_3)
	v_min_i32_e32 v135, 15, v133
	v_cmp_gt_i32_e32 vcc_lo, 16, v133
	v_lshrrev_b32_e32 v18, 24, v18
	v_dual_cndmask_b32 v134, 7, v134 :: v_dual_lshlrev_b32 v135, 3, v135
	s_delay_alu instid0(VALU_DEP_2) | instskip(NEXT) | instid1(VALU_DEP_2)
	v_and_b32_e32 v18, 0x80, v18
	v_and_b32_e32 v135, 0xf8, v135
	s_delay_alu instid0(VALU_DEP_3) | instskip(SKIP_1) | instid1(VALU_DEP_2)
	v_and_b32_e32 v144, 7, v134
	v_or_b32_e32 v133, v133, v134
	v_or3_b32 v18, v18, v135, v144
	s_delay_alu instid0(VALU_DEP_2) | instskip(NEXT) | instid1(VALU_DEP_2)
	v_cmp_ne_u32_e32 vcc_lo, 0, v133
	v_lshlrev_b32_e32 v18, 8, v18
	s_delay_alu instid0(VALU_DEP_1)
	v_cndmask_b32_e32 v133, 0, v18, vcc_lo
.LBB2_723:                              ;   in Loop: Header=BB2_634 Depth=2
	s_or_b32 exec_lo, exec_lo, s18
.LBB2_724:                              ;   in Loop: Header=BB2_634 Depth=2
	s_delay_alu instid0(SALU_CYCLE_1) | instskip(SKIP_3) | instid1(VALU_DEP_1)
	s_or_b32 exec_lo, exec_lo, s8
	v_lshrrev_b32_e32 v18, 16, v87
	s_mov_b32 s7, 0
	s_mov_b32 s18, exec_lo
                                        ; implicit-def: $sgpr8
	v_and_b32_e32 v135, 0xff, v18
	s_delay_alu instid0(VALU_DEP_1)
	v_cmpx_lt_i16_e64 0x7f, v135
	s_xor_b32 s18, exec_lo, s18
	s_cbranch_execnz .LBB2_918
; %bb.725:                              ;   in Loop: Header=BB2_634 Depth=2
	s_or_saveexec_b32 s18, s18
	v_mov_b32_e32 v134, s8
	s_xor_b32 exec_lo, exec_lo, s18
	s_cbranch_execnz .LBB2_921
.LBB2_726:                              ;   in Loop: Header=BB2_634 Depth=2
	s_or_b32 exec_lo, exec_lo, s18
	s_and_saveexec_b32 s8, s7
	s_cbranch_execz .LBB2_728
.LBB2_727:                              ;   in Loop: Header=BB2_634 Depth=2
	v_bfe_u32 v134, v87, 16, 3
	s_delay_alu instid0(VALU_DEP_1) | instskip(NEXT) | instid1(VALU_DEP_1)
	v_clz_i32_u32_e32 v135, v134
	v_min_u32_e32 v135, 32, v135
	s_delay_alu instid0(VALU_DEP_1) | instskip(SKIP_1) | instid1(VALU_DEP_2)
	v_subrev_nc_u32_e32 v144, 28, v135
	v_sub_nc_u32_e32 v135, 29, v135
	v_lshlrev_b32_e32 v18, v144, v18
	v_bfe_u32 v144, v87, 19, 4
	s_delay_alu instid0(VALU_DEP_1) | instskip(NEXT) | instid1(VALU_DEP_3)
	v_cmp_eq_u32_e32 vcc_lo, 0, v144
	v_dual_cndmask_b32 v135, v144, v135 :: v_dual_and_b32 v18, 7, v18
	s_delay_alu instid0(VALU_DEP_1) | instskip(NEXT) | instid1(VALU_DEP_2)
	v_dual_cndmask_b32 v18, v134, v18 :: v_dual_lshlrev_b32 v145, 8, v87
	v_lshl_add_u32 v135, v135, 23, 0x3b800000
	s_delay_alu instid0(VALU_DEP_2) | instskip(NEXT) | instid1(VALU_DEP_3)
	v_and_b32_e32 v134, 0x80000000, v145
	v_lshlrev_b32_e32 v18, 20, v18
	s_delay_alu instid0(VALU_DEP_1)
	v_or3_b32 v134, v134, v135, v18
.LBB2_728:                              ;   in Loop: Header=BB2_634 Depth=2
	s_or_b32 exec_lo, exec_lo, s8
	s_delay_alu instid0(VALU_DEP_1) | instskip(NEXT) | instid1(VALU_DEP_1)
	v_mul_f32_e32 v134, v0, v134
	v_and_b32_e32 v18, 0x7f800000, v134
	s_delay_alu instid0(VALU_DEP_1)
	v_cmp_ne_u32_e32 vcc_lo, 0x7f800000, v18
	v_mov_b32_e32 v18, 0x80
	s_and_saveexec_b32 s8, vcc_lo
	s_cbranch_execz .LBB2_736
; %bb.729:                              ;   in Loop: Header=BB2_634 Depth=2
	v_mov_b32_e32 v18, 0
	s_mov_b32 s18, exec_lo
	v_cmpx_ne_u32_e32 0, v134
	s_cbranch_execz .LBB2_735
; %bb.730:                              ;   in Loop: Header=BB2_634 Depth=2
	v_bfe_u32 v18, v134, 23, 8
	s_delay_alu instid0(VALU_DEP_1) | instskip(SKIP_1) | instid1(VALU_DEP_2)
	v_sub_nc_u32_e32 v144, 0x78, v18
	v_cmp_gt_u32_e32 vcc_lo, 0x79, v18
	v_dual_cndmask_b32 v144, 0, v144 :: v_dual_and_b32 v135, 0x7fffff, v134
	s_delay_alu instid0(VALU_DEP_1) | instskip(SKIP_2) | instid1(VALU_DEP_4)
	v_or_b32_e32 v145, 0x800000, v135
	v_cmp_eq_u32_e32 vcc_lo, 0, v18
	v_add_nc_u32_e32 v18, 0xffffff89, v18
	v_cndmask_b32_e64 v144, v144, 0x77, vcc_lo
	s_delay_alu instid0(VALU_DEP_4) | instskip(NEXT) | instid1(VALU_DEP_3)
	v_cndmask_b32_e32 v135, v145, v135, vcc_lo
	v_cndmask_b32_e64 v18, v18, 0xffffff8a, vcc_lo
	s_delay_alu instid0(VALU_DEP_3) | instskip(NEXT) | instid1(VALU_DEP_3)
	v_lshl_add_u32 v145, 0x100000, v144, -1
	v_lshrrev_b32_e32 v146, v144, v135
	v_lshlrev_b32_e64 v148, v144, 0x80000
	s_delay_alu instid0(VALU_DEP_4) | instskip(NEXT) | instid1(VALU_DEP_4)
	v_add_nc_u32_e32 v144, v144, v18
	v_and_b32_e32 v135, v145, v135
	s_delay_alu instid0(VALU_DEP_4) | instskip(NEXT) | instid1(VALU_DEP_2)
	v_bfe_u32 v147, v146, 20, 1
	v_cmp_eq_u32_e64 s7, v135, v148
	s_delay_alu instid0(VALU_DEP_2) | instskip(NEXT) | instid1(VALU_DEP_1)
	v_add_nc_u32_e32 v145, -1, v147
	v_cndmask_b32_e64 v135, 0, v145, s7
	v_lshrrev_b32_e32 v145, 23, v146
	s_mov_b32 s7, exec_lo
	s_delay_alu instid0(VALU_DEP_2) | instskip(NEXT) | instid1(VALU_DEP_2)
	v_add_nc_u32_e32 v135, v135, v146
	v_xor_b32_e32 v145, 1, v145
	s_delay_alu instid0(VALU_DEP_2) | instskip(NEXT) | instid1(VALU_DEP_1)
	v_and_b32_e32 v18, 0xfffff, v135
	v_add_nc_u32_e32 v135, v18, v146
                                        ; implicit-def: $vgpr18
	s_delay_alu instid0(VALU_DEP_3)
	v_cmpx_ne_u32_e64 v144, v145
	s_xor_b32 s7, exec_lo, s7
; %bb.731:                              ;   in Loop: Header=BB2_634 Depth=2
	s_delay_alu instid0(VALU_DEP_2) | instskip(SKIP_2) | instid1(VALU_DEP_2)
	v_cmp_lt_u32_e32 vcc_lo, 0xffffff, v135
	v_sub_nc_u32_e32 v18, v144, v145
	v_cndmask_b32_e64 v144, 0, 1, vcc_lo
	v_add_co_ci_u32_e32 v18, vcc_lo, 0, v18, vcc_lo
	s_delay_alu instid0(VALU_DEP_2)
	v_lshrrev_b32_e32 v135, v144, v135
; %bb.732:                              ;   in Loop: Header=BB2_634 Depth=2
	s_and_not1_saveexec_b32 s7, s7
; %bb.733:                              ;   in Loop: Header=BB2_634 Depth=2
	s_delay_alu instid0(VALU_DEP_1)
	v_bfe_u32 v18, v135, 23, 1
; %bb.734:                              ;   in Loop: Header=BB2_634 Depth=2
	s_or_b32 exec_lo, exec_lo, s7
	v_lshrrev_b32_e32 v135, 20, v135
	s_delay_alu instid0(VALU_DEP_2) | instskip(SKIP_2) | instid1(VALU_DEP_2)
	v_cmp_gt_i32_e32 vcc_lo, 16, v18
	v_min_i32_e32 v144, 15, v18
	v_lshrrev_b32_e32 v134, 24, v134
	v_dual_cndmask_b32 v135, 7, v135 :: v_dual_lshlrev_b32 v144, 3, v144
	s_delay_alu instid0(VALU_DEP_2) | instskip(NEXT) | instid1(VALU_DEP_2)
	v_and_b32_e32 v134, 0x80, v134
	v_or_b32_e32 v18, v18, v135
	s_delay_alu instid0(VALU_DEP_3) | instskip(NEXT) | instid1(VALU_DEP_2)
	v_and_b32_e32 v144, 0xf8, v144
	v_cmp_ne_u32_e32 vcc_lo, 0, v18
	v_and_b32_e32 v145, 7, v135
	s_delay_alu instid0(VALU_DEP_1) | instskip(NEXT) | instid1(VALU_DEP_1)
	v_or3_b32 v134, v144, v134, v145
	v_cndmask_b32_e32 v18, 0, v134, vcc_lo
.LBB2_735:                              ;   in Loop: Header=BB2_634 Depth=2
	s_or_b32 exec_lo, exec_lo, s18
.LBB2_736:                              ;   in Loop: Header=BB2_634 Depth=2
	s_delay_alu instid0(SALU_CYCLE_1) | instskip(SKIP_3) | instid1(VALU_DEP_1)
	s_or_b32 exec_lo, exec_lo, s8
	v_lshrrev_b32_e32 v134, 24, v87
	s_mov_b32 s7, 0
	s_mov_b32 s18, exec_lo
                                        ; implicit-def: $sgpr8
	v_cmpx_lt_i16_e64 0x7f, v134
	s_xor_b32 s18, exec_lo, s18
	s_cbranch_execnz .LBB2_922
; %bb.737:                              ;   in Loop: Header=BB2_634 Depth=2
	s_or_saveexec_b32 s18, s18
	v_mov_b32_e32 v135, s8
	s_xor_b32 exec_lo, exec_lo, s18
	s_cbranch_execnz .LBB2_925
.LBB2_738:                              ;   in Loop: Header=BB2_634 Depth=2
	s_or_b32 exec_lo, exec_lo, s18
	s_and_saveexec_b32 s8, s7
	s_cbranch_execz .LBB2_740
.LBB2_739:                              ;   in Loop: Header=BB2_634 Depth=2
	v_bfe_u32 v135, v87, 24, 3
	s_delay_alu instid0(VALU_DEP_1) | instskip(NEXT) | instid1(VALU_DEP_1)
	v_clz_i32_u32_e32 v144, v135
	v_min_u32_e32 v144, 32, v144
	s_delay_alu instid0(VALU_DEP_1) | instskip(SKIP_1) | instid1(VALU_DEP_2)
	v_subrev_nc_u32_e32 v145, 28, v144
	v_sub_nc_u32_e32 v144, 29, v144
	v_lshlrev_b32_e32 v134, v145, v134
	v_bfe_u32 v145, v87, 27, 4
	v_and_b32_e32 v87, 0x80000000, v87
	s_delay_alu instid0(VALU_DEP_3) | instskip(NEXT) | instid1(VALU_DEP_3)
	v_and_b32_e32 v134, 7, v134
	v_cmp_eq_u32_e32 vcc_lo, 0, v145
	v_cndmask_b32_e32 v144, v145, v144, vcc_lo
	s_delay_alu instid0(VALU_DEP_3) | instskip(NEXT) | instid1(VALU_DEP_2)
	v_cndmask_b32_e32 v134, v135, v134, vcc_lo
	v_lshl_add_u32 v135, v144, 23, 0x3b800000
	s_delay_alu instid0(VALU_DEP_2) | instskip(NEXT) | instid1(VALU_DEP_1)
	v_lshlrev_b32_e32 v134, 20, v134
	v_or3_b32 v135, v87, v135, v134
.LBB2_740:                              ;   in Loop: Header=BB2_634 Depth=2
	s_or_b32 exec_lo, exec_lo, s8
	s_delay_alu instid0(VALU_DEP_1) | instskip(NEXT) | instid1(VALU_DEP_1)
	v_mul_f32_e32 v134, v0, v135
	v_and_b32_e32 v87, 0x7f800000, v134
	s_delay_alu instid0(VALU_DEP_1)
	v_cmp_ne_u32_e32 vcc_lo, 0x7f800000, v87
	v_mov_b32_e32 v87, 0x8000
	s_and_saveexec_b32 s8, vcc_lo
	s_cbranch_execz .LBB2_748
; %bb.741:                              ;   in Loop: Header=BB2_634 Depth=2
	v_mov_b32_e32 v87, 0
	s_mov_b32 s18, exec_lo
	v_cmpx_ne_u32_e32 0, v134
	s_cbranch_execz .LBB2_747
; %bb.742:                              ;   in Loop: Header=BB2_634 Depth=2
	v_bfe_u32 v87, v134, 23, 8
	s_delay_alu instid0(VALU_DEP_1) | instskip(SKIP_1) | instid1(VALU_DEP_2)
	v_sub_nc_u32_e32 v144, 0x78, v87
	v_cmp_gt_u32_e32 vcc_lo, 0x79, v87
	v_dual_cndmask_b32 v144, 0, v144 :: v_dual_and_b32 v135, 0x7fffff, v134
	s_delay_alu instid0(VALU_DEP_1) | instskip(SKIP_2) | instid1(VALU_DEP_4)
	v_or_b32_e32 v145, 0x800000, v135
	v_cmp_eq_u32_e32 vcc_lo, 0, v87
	v_add_nc_u32_e32 v87, 0xffffff89, v87
	v_cndmask_b32_e64 v144, v144, 0x77, vcc_lo
	s_delay_alu instid0(VALU_DEP_4) | instskip(NEXT) | instid1(VALU_DEP_3)
	v_cndmask_b32_e32 v135, v145, v135, vcc_lo
	v_cndmask_b32_e64 v87, v87, 0xffffff8a, vcc_lo
	s_delay_alu instid0(VALU_DEP_3) | instskip(NEXT) | instid1(VALU_DEP_3)
	v_lshl_add_u32 v145, 0x100000, v144, -1
	v_lshrrev_b32_e32 v146, v144, v135
	v_lshlrev_b32_e64 v148, v144, 0x80000
	s_delay_alu instid0(VALU_DEP_4) | instskip(NEXT) | instid1(VALU_DEP_4)
	v_add_nc_u32_e32 v144, v144, v87
	v_and_b32_e32 v135, v145, v135
	s_delay_alu instid0(VALU_DEP_4) | instskip(NEXT) | instid1(VALU_DEP_2)
	v_bfe_u32 v147, v146, 20, 1
	v_cmp_eq_u32_e64 s7, v135, v148
	s_delay_alu instid0(VALU_DEP_2) | instskip(NEXT) | instid1(VALU_DEP_1)
	v_add_nc_u32_e32 v145, -1, v147
	v_cndmask_b32_e64 v135, 0, v145, s7
	v_lshrrev_b32_e32 v145, 23, v146
	s_mov_b32 s7, exec_lo
	s_delay_alu instid0(VALU_DEP_2) | instskip(NEXT) | instid1(VALU_DEP_2)
	v_add_nc_u32_e32 v135, v135, v146
	v_xor_b32_e32 v145, 1, v145
	s_delay_alu instid0(VALU_DEP_2) | instskip(NEXT) | instid1(VALU_DEP_1)
	v_and_b32_e32 v87, 0xfffff, v135
	v_add_nc_u32_e32 v135, v87, v146
                                        ; implicit-def: $vgpr87
	s_delay_alu instid0(VALU_DEP_3)
	v_cmpx_ne_u32_e64 v144, v145
	s_xor_b32 s7, exec_lo, s7
; %bb.743:                              ;   in Loop: Header=BB2_634 Depth=2
	s_delay_alu instid0(VALU_DEP_2) | instskip(SKIP_2) | instid1(VALU_DEP_2)
	v_cmp_lt_u32_e32 vcc_lo, 0xffffff, v135
	v_sub_nc_u32_e32 v87, v144, v145
	v_cndmask_b32_e64 v144, 0, 1, vcc_lo
	v_add_co_ci_u32_e32 v87, vcc_lo, 0, v87, vcc_lo
	s_delay_alu instid0(VALU_DEP_2)
	v_lshrrev_b32_e32 v135, v144, v135
; %bb.744:                              ;   in Loop: Header=BB2_634 Depth=2
	s_and_not1_saveexec_b32 s7, s7
; %bb.745:                              ;   in Loop: Header=BB2_634 Depth=2
	s_delay_alu instid0(VALU_DEP_1)
	v_bfe_u32 v87, v135, 23, 1
; %bb.746:                              ;   in Loop: Header=BB2_634 Depth=2
	s_or_b32 exec_lo, exec_lo, s7
	v_lshrrev_b32_e32 v135, 20, v135
	s_delay_alu instid0(VALU_DEP_2) | instskip(SKIP_2) | instid1(VALU_DEP_2)
	v_cmp_gt_i32_e32 vcc_lo, 16, v87
	v_min_i32_e32 v144, 15, v87
	v_lshrrev_b32_e32 v134, 24, v134
	v_dual_cndmask_b32 v135, 7, v135 :: v_dual_lshlrev_b32 v144, 3, v144
	s_delay_alu instid0(VALU_DEP_2) | instskip(NEXT) | instid1(VALU_DEP_2)
	v_and_b32_e32 v134, 0x80, v134
	v_or_b32_e32 v87, v87, v135
	v_and_b32_e32 v145, 7, v135
	s_delay_alu instid0(VALU_DEP_2) | instskip(SKIP_1) | instid1(VALU_DEP_1)
	v_cmp_ne_u32_e32 vcc_lo, 0, v87
	v_and_b32_e32 v144, 0xf8, v144
	v_or3_b32 v134, v134, v144, v145
	s_delay_alu instid0(VALU_DEP_1) | instskip(NEXT) | instid1(VALU_DEP_1)
	v_lshlrev_b32_e32 v134, 8, v134
	v_cndmask_b32_e32 v87, 0, v134, vcc_lo
.LBB2_747:                              ;   in Loop: Header=BB2_634 Depth=2
	s_or_b32 exec_lo, exec_lo, s18
.LBB2_748:                              ;   in Loop: Header=BB2_634 Depth=2
	s_delay_alu instid0(SALU_CYCLE_1) | instskip(SKIP_3) | instid1(VALU_DEP_1)
	s_or_b32 exec_lo, exec_lo, s8
	v_and_b32_e32 v135, 0xff, v17
	s_mov_b32 s7, 0
	s_mov_b32 s18, exec_lo
                                        ; implicit-def: $sgpr8
	v_cmpx_lt_i16_e64 0x7f, v135
	s_xor_b32 s18, exec_lo, s18
	s_cbranch_execnz .LBB2_926
; %bb.749:                              ;   in Loop: Header=BB2_634 Depth=2
	s_or_saveexec_b32 s18, s18
	v_mov_b32_e32 v134, s8
	s_xor_b32 exec_lo, exec_lo, s18
	s_cbranch_execnz .LBB2_929
.LBB2_750:                              ;   in Loop: Header=BB2_634 Depth=2
	s_or_b32 exec_lo, exec_lo, s18
	s_and_saveexec_b32 s8, s7
	s_cbranch_execz .LBB2_752
.LBB2_751:                              ;   in Loop: Header=BB2_634 Depth=2
	v_bfe_u32 v145, v17, 3, 4
	v_lshlrev_b32_e32 v146, 24, v17
	s_delay_alu instid0(VALU_DEP_2) | instskip(SKIP_1) | instid1(VALU_DEP_1)
	v_cmp_eq_u32_e32 vcc_lo, 0, v145
	v_and_b32_e32 v134, 7, v17
	v_clz_i32_u32_e32 v135, v134
	s_delay_alu instid0(VALU_DEP_1) | instskip(NEXT) | instid1(VALU_DEP_1)
	v_min_u32_e32 v135, 32, v135
	v_subrev_nc_u32_e32 v144, 28, v135
	v_sub_nc_u32_e32 v135, 29, v135
	s_delay_alu instid0(VALU_DEP_1) | instskip(NEXT) | instid1(VALU_DEP_1)
	v_dual_cndmask_b32 v135, v145, v135 :: v_dual_lshlrev_b32 v144, v144, v17
	v_and_b32_e32 v144, 7, v144
	s_delay_alu instid0(VALU_DEP_2) | instskip(NEXT) | instid1(VALU_DEP_2)
	v_lshl_add_u32 v135, v135, 23, 0x3b800000
	v_cndmask_b32_e32 v134, v134, v144, vcc_lo
	v_and_b32_e32 v144, 0x80000000, v146
	s_delay_alu instid0(VALU_DEP_2) | instskip(NEXT) | instid1(VALU_DEP_1)
	v_lshlrev_b32_e32 v134, 20, v134
	v_or3_b32 v134, v144, v135, v134
.LBB2_752:                              ;   in Loop: Header=BB2_634 Depth=2
	s_or_b32 exec_lo, exec_lo, s8
	v_and_b32_e32 v144, 0xff, v20
	s_mov_b32 s7, 0
	s_mov_b32 s18, exec_lo
                                        ; implicit-def: $sgpr8
	s_delay_alu instid0(VALU_DEP_1)
	v_cmpx_lt_i16_e64 0x7f, v144
	s_xor_b32 s18, exec_lo, s18
	s_cbranch_execnz .LBB2_930
; %bb.753:                              ;   in Loop: Header=BB2_634 Depth=2
	s_or_saveexec_b32 s18, s18
	v_mov_b32_e32 v135, s8
	s_xor_b32 exec_lo, exec_lo, s18
	s_cbranch_execnz .LBB2_933
.LBB2_754:                              ;   in Loop: Header=BB2_634 Depth=2
	s_or_b32 exec_lo, exec_lo, s18
	s_and_saveexec_b32 s8, s7
	s_cbranch_execz .LBB2_756
.LBB2_755:                              ;   in Loop: Header=BB2_634 Depth=2
	v_and_b32_e32 v135, 7, v20
	v_bfe_u32 v146, v20, 3, 4
	s_delay_alu instid0(VALU_DEP_2) | instskip(NEXT) | instid1(VALU_DEP_2)
	v_clz_i32_u32_e32 v144, v135
	v_cmp_eq_u32_e32 vcc_lo, 0, v146
	s_delay_alu instid0(VALU_DEP_2) | instskip(NEXT) | instid1(VALU_DEP_1)
	v_min_u32_e32 v144, 32, v144
	v_subrev_nc_u32_e32 v145, 28, v144
	v_sub_nc_u32_e32 v144, 29, v144
	s_delay_alu instid0(VALU_DEP_2) | instskip(NEXT) | instid1(VALU_DEP_1)
	v_lshlrev_b32_e32 v145, v145, v20
	v_dual_cndmask_b32 v144, v146, v144 :: v_dual_and_b32 v145, 7, v145
	v_lshlrev_b32_e32 v20, 24, v20
	s_delay_alu instid0(VALU_DEP_2) | instskip(NEXT) | instid1(VALU_DEP_2)
	v_lshl_add_u32 v144, v144, 23, 0x3b800000
	v_dual_cndmask_b32 v135, v135, v145 :: v_dual_and_b32 v20, 0x80000000, v20
	s_delay_alu instid0(VALU_DEP_1) | instskip(NEXT) | instid1(VALU_DEP_1)
	v_lshlrev_b32_e32 v135, 20, v135
	v_or3_b32 v135, v20, v144, v135
.LBB2_756:                              ;   in Loop: Header=BB2_634 Depth=2
	s_or_b32 exec_lo, exec_lo, s8
	s_delay_alu instid0(VALU_DEP_1) | instskip(NEXT) | instid1(VALU_DEP_1)
	v_add_f32_e32 v134, v134, v135
	v_and_b32_e32 v20, 0x7f800000, v134
	s_delay_alu instid0(VALU_DEP_1)
	v_cmp_ne_u32_e32 vcc_lo, 0x7f800000, v20
	v_mov_b32_e32 v20, 0x80
	s_and_saveexec_b32 s8, vcc_lo
	s_cbranch_execz .LBB2_764
; %bb.757:                              ;   in Loop: Header=BB2_634 Depth=2
	v_mov_b32_e32 v20, 0
	s_mov_b32 s18, exec_lo
	v_cmpx_ne_u32_e32 0, v134
	s_cbranch_execz .LBB2_763
; %bb.758:                              ;   in Loop: Header=BB2_634 Depth=2
	v_bfe_u32 v20, v134, 23, 8
	s_delay_alu instid0(VALU_DEP_1) | instskip(SKIP_1) | instid1(VALU_DEP_2)
	v_sub_nc_u32_e32 v144, 0x78, v20
	v_cmp_gt_u32_e32 vcc_lo, 0x79, v20
	v_dual_cndmask_b32 v144, 0, v144 :: v_dual_and_b32 v135, 0x7fffff, v134
	s_delay_alu instid0(VALU_DEP_1) | instskip(SKIP_2) | instid1(VALU_DEP_4)
	v_or_b32_e32 v145, 0x800000, v135
	v_cmp_eq_u32_e32 vcc_lo, 0, v20
	v_add_nc_u32_e32 v20, 0xffffff89, v20
	v_cndmask_b32_e64 v144, v144, 0x77, vcc_lo
	s_delay_alu instid0(VALU_DEP_4) | instskip(NEXT) | instid1(VALU_DEP_3)
	v_cndmask_b32_e32 v135, v145, v135, vcc_lo
	v_cndmask_b32_e64 v20, v20, 0xffffff8a, vcc_lo
	s_delay_alu instid0(VALU_DEP_3) | instskip(NEXT) | instid1(VALU_DEP_3)
	v_lshl_add_u32 v145, 0x100000, v144, -1
	v_lshrrev_b32_e32 v146, v144, v135
	v_lshlrev_b32_e64 v148, v144, 0x80000
	s_delay_alu instid0(VALU_DEP_4) | instskip(NEXT) | instid1(VALU_DEP_4)
	v_add_nc_u32_e32 v144, v144, v20
	v_and_b32_e32 v135, v145, v135
	s_delay_alu instid0(VALU_DEP_4) | instskip(NEXT) | instid1(VALU_DEP_2)
	v_bfe_u32 v147, v146, 20, 1
	v_cmp_eq_u32_e64 s7, v135, v148
	s_delay_alu instid0(VALU_DEP_2) | instskip(NEXT) | instid1(VALU_DEP_1)
	v_add_nc_u32_e32 v145, -1, v147
	v_cndmask_b32_e64 v135, 0, v145, s7
	v_lshrrev_b32_e32 v145, 23, v146
	s_mov_b32 s7, exec_lo
	s_delay_alu instid0(VALU_DEP_2) | instskip(NEXT) | instid1(VALU_DEP_2)
	v_add_nc_u32_e32 v135, v135, v146
	v_xor_b32_e32 v145, 1, v145
	s_delay_alu instid0(VALU_DEP_2) | instskip(NEXT) | instid1(VALU_DEP_1)
	v_and_b32_e32 v20, 0xfffff, v135
	v_add_nc_u32_e32 v135, v20, v146
                                        ; implicit-def: $vgpr20
	s_delay_alu instid0(VALU_DEP_3)
	v_cmpx_ne_u32_e64 v144, v145
	s_xor_b32 s7, exec_lo, s7
; %bb.759:                              ;   in Loop: Header=BB2_634 Depth=2
	s_delay_alu instid0(VALU_DEP_2) | instskip(SKIP_2) | instid1(VALU_DEP_2)
	v_cmp_lt_u32_e32 vcc_lo, 0xffffff, v135
	v_sub_nc_u32_e32 v20, v144, v145
	v_cndmask_b32_e64 v144, 0, 1, vcc_lo
	v_add_co_ci_u32_e32 v20, vcc_lo, 0, v20, vcc_lo
	s_delay_alu instid0(VALU_DEP_2)
	v_lshrrev_b32_e32 v135, v144, v135
; %bb.760:                              ;   in Loop: Header=BB2_634 Depth=2
	s_and_not1_saveexec_b32 s7, s7
; %bb.761:                              ;   in Loop: Header=BB2_634 Depth=2
	s_delay_alu instid0(VALU_DEP_1)
	v_bfe_u32 v20, v135, 23, 1
; %bb.762:                              ;   in Loop: Header=BB2_634 Depth=2
	s_or_b32 exec_lo, exec_lo, s7
	v_lshrrev_b32_e32 v135, 20, v135
	s_delay_alu instid0(VALU_DEP_2) | instskip(SKIP_2) | instid1(VALU_DEP_2)
	v_cmp_gt_i32_e32 vcc_lo, 16, v20
	v_lshrrev_b32_e32 v134, 24, v134
	v_min_i32_e32 v144, 15, v20
	v_dual_cndmask_b32 v135, 7, v135 :: v_dual_and_b32 v134, 0x80, v134
	s_delay_alu instid0(VALU_DEP_2) | instskip(NEXT) | instid1(VALU_DEP_2)
	v_lshlrev_b32_e32 v144, 3, v144
	v_or_b32_e32 v20, v20, v135
	s_delay_alu instid0(VALU_DEP_1) | instskip(SKIP_1) | instid1(VALU_DEP_1)
	v_cmp_ne_u32_e32 vcc_lo, 0, v20
	v_and_b32_e32 v145, 7, v135
	v_or3_b32 v134, v144, v134, v145
	s_delay_alu instid0(VALU_DEP_1)
	v_cndmask_b32_e32 v20, 0, v134, vcc_lo
.LBB2_763:                              ;   in Loop: Header=BB2_634 Depth=2
	s_or_b32 exec_lo, exec_lo, s18
.LBB2_764:                              ;   in Loop: Header=BB2_634 Depth=2
	s_delay_alu instid0(SALU_CYCLE_1) | instskip(SKIP_3) | instid1(VALU_DEP_1)
	s_or_b32 exec_lo, exec_lo, s8
	v_lshrrev_b16 v135, 8, v17
	s_mov_b32 s7, 0
	s_mov_b32 s18, exec_lo
                                        ; implicit-def: $sgpr8
	v_cmpx_lt_i16_e64 0x7f, v135
	s_xor_b32 s18, exec_lo, s18
	s_cbranch_execnz .LBB2_934
; %bb.765:                              ;   in Loop: Header=BB2_634 Depth=2
	s_or_saveexec_b32 s18, s18
	v_mov_b32_e32 v134, s8
	s_xor_b32 exec_lo, exec_lo, s18
	s_cbranch_execnz .LBB2_937
.LBB2_766:                              ;   in Loop: Header=BB2_634 Depth=2
	s_or_b32 exec_lo, exec_lo, s18
	s_and_saveexec_b32 s8, s7
	s_cbranch_execz .LBB2_768
.LBB2_767:                              ;   in Loop: Header=BB2_634 Depth=2
	v_and_b32_e32 v134, 0xffff, v135
	s_delay_alu instid0(VALU_DEP_1) | instskip(NEXT) | instid1(VALU_DEP_1)
	v_and_b32_e32 v144, 7, v134
	v_clz_i32_u32_e32 v145, v144
	s_delay_alu instid0(VALU_DEP_1) | instskip(NEXT) | instid1(VALU_DEP_1)
	v_min_u32_e32 v145, 32, v145
	v_subrev_nc_u32_e32 v146, 28, v145
	v_sub_nc_u32_e32 v145, 29, v145
	s_delay_alu instid0(VALU_DEP_2) | instskip(SKIP_1) | instid1(VALU_DEP_2)
	v_lshlrev_b32_e32 v146, v146, v134
	v_bfe_u32 v134, v134, 3, 4
	v_and_b32_e32 v146, 7, v146
	s_delay_alu instid0(VALU_DEP_2) | instskip(SKIP_1) | instid1(VALU_DEP_1)
	v_cmp_eq_u32_e32 vcc_lo, 0, v134
	v_dual_cndmask_b32 v134, v134, v145 :: v_dual_lshlrev_b32 v135, 24, v135
	v_dual_cndmask_b32 v144, v144, v146 :: v_dual_and_b32 v135, 0x80000000, v135
	s_delay_alu instid0(VALU_DEP_2) | instskip(NEXT) | instid1(VALU_DEP_2)
	v_lshl_add_u32 v134, v134, 23, 0x3b800000
	v_lshlrev_b32_e32 v144, 20, v144
	s_delay_alu instid0(VALU_DEP_1)
	v_or3_b32 v134, v135, v134, v144
.LBB2_768:                              ;   in Loop: Header=BB2_634 Depth=2
	s_or_b32 exec_lo, exec_lo, s8
	v_and_b32_e32 v144, 0xff, v82
	s_mov_b32 s7, 0
	s_mov_b32 s18, exec_lo
                                        ; implicit-def: $sgpr8
	s_delay_alu instid0(VALU_DEP_1)
	v_cmpx_lt_i16_e64 0x7f, v144
	s_xor_b32 s18, exec_lo, s18
	s_cbranch_execnz .LBB2_938
; %bb.769:                              ;   in Loop: Header=BB2_634 Depth=2
	s_or_saveexec_b32 s18, s18
	v_mov_b32_e32 v135, s8
	s_xor_b32 exec_lo, exec_lo, s18
	s_cbranch_execnz .LBB2_941
.LBB2_770:                              ;   in Loop: Header=BB2_634 Depth=2
	s_or_b32 exec_lo, exec_lo, s18
	s_and_saveexec_b32 s8, s7
	s_cbranch_execz .LBB2_772
.LBB2_771:                              ;   in Loop: Header=BB2_634 Depth=2
	v_bfe_u32 v146, v82, 3, 4
	s_delay_alu instid0(VALU_DEP_1) | instskip(SKIP_1) | instid1(VALU_DEP_1)
	v_cmp_eq_u32_e32 vcc_lo, 0, v146
	v_and_b32_e32 v135, 7, v82
	v_clz_i32_u32_e32 v144, v135
	s_delay_alu instid0(VALU_DEP_1) | instskip(NEXT) | instid1(VALU_DEP_1)
	v_min_u32_e32 v144, 32, v144
	v_subrev_nc_u32_e32 v145, 28, v144
	v_sub_nc_u32_e32 v144, 29, v144
	s_delay_alu instid0(VALU_DEP_1) | instskip(NEXT) | instid1(VALU_DEP_1)
	v_dual_cndmask_b32 v144, v146, v144 :: v_dual_lshlrev_b32 v145, v145, v82
	v_and_b32_e32 v145, 7, v145
	v_lshlrev_b32_e32 v82, 24, v82
	s_delay_alu instid0(VALU_DEP_3) | instskip(NEXT) | instid1(VALU_DEP_2)
	v_lshl_add_u32 v144, v144, 23, 0x3b800000
	v_dual_cndmask_b32 v135, v135, v145 :: v_dual_and_b32 v82, 0x80000000, v82
	s_delay_alu instid0(VALU_DEP_1) | instskip(NEXT) | instid1(VALU_DEP_1)
	v_lshlrev_b32_e32 v135, 20, v135
	v_or3_b32 v135, v82, v144, v135
.LBB2_772:                              ;   in Loop: Header=BB2_634 Depth=2
	s_or_b32 exec_lo, exec_lo, s8
	s_delay_alu instid0(VALU_DEP_1) | instskip(NEXT) | instid1(VALU_DEP_1)
	v_add_f32_e32 v134, v134, v135
	v_and_b32_e32 v82, 0x7f800000, v134
	s_delay_alu instid0(VALU_DEP_1)
	v_cmp_ne_u32_e32 vcc_lo, 0x7f800000, v82
	v_mov_b32_e32 v82, 0x80
	s_and_saveexec_b32 s8, vcc_lo
	s_cbranch_execz .LBB2_780
; %bb.773:                              ;   in Loop: Header=BB2_634 Depth=2
	v_mov_b32_e32 v82, 0
	s_mov_b32 s18, exec_lo
	v_cmpx_ne_u32_e32 0, v134
	s_cbranch_execz .LBB2_779
; %bb.774:                              ;   in Loop: Header=BB2_634 Depth=2
	v_bfe_u32 v82, v134, 23, 8
	s_delay_alu instid0(VALU_DEP_1) | instskip(SKIP_1) | instid1(VALU_DEP_2)
	v_sub_nc_u32_e32 v144, 0x78, v82
	v_cmp_gt_u32_e32 vcc_lo, 0x79, v82
	v_dual_cndmask_b32 v144, 0, v144 :: v_dual_and_b32 v135, 0x7fffff, v134
	s_delay_alu instid0(VALU_DEP_1) | instskip(SKIP_2) | instid1(VALU_DEP_4)
	v_or_b32_e32 v145, 0x800000, v135
	v_cmp_eq_u32_e32 vcc_lo, 0, v82
	v_add_nc_u32_e32 v82, 0xffffff89, v82
	v_cndmask_b32_e64 v144, v144, 0x77, vcc_lo
	s_delay_alu instid0(VALU_DEP_4) | instskip(NEXT) | instid1(VALU_DEP_3)
	v_cndmask_b32_e32 v135, v145, v135, vcc_lo
	v_cndmask_b32_e64 v82, v82, 0xffffff8a, vcc_lo
	s_delay_alu instid0(VALU_DEP_3) | instskip(NEXT) | instid1(VALU_DEP_3)
	v_lshl_add_u32 v145, 0x100000, v144, -1
	v_lshrrev_b32_e32 v146, v144, v135
	v_lshlrev_b32_e64 v148, v144, 0x80000
	s_delay_alu instid0(VALU_DEP_4) | instskip(NEXT) | instid1(VALU_DEP_4)
	v_add_nc_u32_e32 v144, v144, v82
	v_and_b32_e32 v135, v145, v135
	s_delay_alu instid0(VALU_DEP_4) | instskip(NEXT) | instid1(VALU_DEP_2)
	v_bfe_u32 v147, v146, 20, 1
	v_cmp_eq_u32_e64 s7, v135, v148
	s_delay_alu instid0(VALU_DEP_2) | instskip(NEXT) | instid1(VALU_DEP_1)
	v_add_nc_u32_e32 v145, -1, v147
	v_cndmask_b32_e64 v135, 0, v145, s7
	v_lshrrev_b32_e32 v145, 23, v146
	s_mov_b32 s7, exec_lo
	s_delay_alu instid0(VALU_DEP_2) | instskip(NEXT) | instid1(VALU_DEP_2)
	v_add_nc_u32_e32 v135, v135, v146
	v_xor_b32_e32 v145, 1, v145
	s_delay_alu instid0(VALU_DEP_2) | instskip(NEXT) | instid1(VALU_DEP_1)
	v_and_b32_e32 v82, 0xfffff, v135
	v_add_nc_u32_e32 v135, v82, v146
                                        ; implicit-def: $vgpr82
	s_delay_alu instid0(VALU_DEP_3)
	v_cmpx_ne_u32_e64 v144, v145
	s_xor_b32 s7, exec_lo, s7
; %bb.775:                              ;   in Loop: Header=BB2_634 Depth=2
	s_delay_alu instid0(VALU_DEP_2) | instskip(SKIP_2) | instid1(VALU_DEP_2)
	v_cmp_lt_u32_e32 vcc_lo, 0xffffff, v135
	v_sub_nc_u32_e32 v82, v144, v145
	v_cndmask_b32_e64 v144, 0, 1, vcc_lo
	v_add_co_ci_u32_e32 v82, vcc_lo, 0, v82, vcc_lo
	s_delay_alu instid0(VALU_DEP_2)
	v_lshrrev_b32_e32 v135, v144, v135
; %bb.776:                              ;   in Loop: Header=BB2_634 Depth=2
	s_and_not1_saveexec_b32 s7, s7
; %bb.777:                              ;   in Loop: Header=BB2_634 Depth=2
	s_delay_alu instid0(VALU_DEP_1)
	v_bfe_u32 v82, v135, 23, 1
; %bb.778:                              ;   in Loop: Header=BB2_634 Depth=2
	s_or_b32 exec_lo, exec_lo, s7
	v_lshrrev_b32_e32 v135, 20, v135
	s_delay_alu instid0(VALU_DEP_2) | instskip(SKIP_2) | instid1(VALU_DEP_2)
	v_cmp_gt_i32_e32 vcc_lo, 16, v82
	v_lshrrev_b32_e32 v134, 24, v134
	v_min_i32_e32 v144, 15, v82
	v_dual_cndmask_b32 v135, 7, v135 :: v_dual_and_b32 v134, 0x80, v134
	s_delay_alu instid0(VALU_DEP_2) | instskip(NEXT) | instid1(VALU_DEP_2)
	v_lshlrev_b32_e32 v144, 3, v144
	v_or_b32_e32 v82, v82, v135
	s_delay_alu instid0(VALU_DEP_1) | instskip(SKIP_1) | instid1(VALU_DEP_1)
	v_cmp_ne_u32_e32 vcc_lo, 0, v82
	v_and_b32_e32 v145, 7, v135
	v_or3_b32 v134, v144, v134, v145
	s_delay_alu instid0(VALU_DEP_1)
	v_cndmask_b32_e32 v82, 0, v134, vcc_lo
.LBB2_779:                              ;   in Loop: Header=BB2_634 Depth=2
	s_or_b32 exec_lo, exec_lo, s18
.LBB2_780:                              ;   in Loop: Header=BB2_634 Depth=2
	s_delay_alu instid0(SALU_CYCLE_1) | instskip(SKIP_3) | instid1(VALU_DEP_1)
	s_or_b32 exec_lo, exec_lo, s8
	v_lshrrev_b32_e32 v135, 16, v17
	s_mov_b32 s7, 0
	s_mov_b32 s18, exec_lo
                                        ; implicit-def: $sgpr8
	v_and_b32_e32 v144, 0xff, v135
	s_delay_alu instid0(VALU_DEP_1)
	v_cmpx_lt_i16_e64 0x7f, v144
	s_xor_b32 s18, exec_lo, s18
	s_cbranch_execnz .LBB2_942
; %bb.781:                              ;   in Loop: Header=BB2_634 Depth=2
	s_or_saveexec_b32 s18, s18
	v_mov_b32_e32 v134, s8
	s_xor_b32 exec_lo, exec_lo, s18
	s_cbranch_execnz .LBB2_945
.LBB2_782:                              ;   in Loop: Header=BB2_634 Depth=2
	s_or_b32 exec_lo, exec_lo, s18
	s_and_saveexec_b32 s8, s7
	s_cbranch_execz .LBB2_784
.LBB2_783:                              ;   in Loop: Header=BB2_634 Depth=2
	v_bfe_u32 v134, v17, 16, 3
	v_lshlrev_b32_e32 v146, 8, v17
	s_delay_alu instid0(VALU_DEP_2) | instskip(NEXT) | instid1(VALU_DEP_1)
	v_clz_i32_u32_e32 v144, v134
	v_min_u32_e32 v144, 32, v144
	s_delay_alu instid0(VALU_DEP_1) | instskip(SKIP_1) | instid1(VALU_DEP_2)
	v_subrev_nc_u32_e32 v145, 28, v144
	v_sub_nc_u32_e32 v144, 29, v144
	v_lshlrev_b32_e32 v135, v145, v135
	v_bfe_u32 v145, v17, 19, 4
	s_delay_alu instid0(VALU_DEP_1) | instskip(NEXT) | instid1(VALU_DEP_3)
	v_cmp_eq_u32_e32 vcc_lo, 0, v145
	v_dual_cndmask_b32 v144, v145, v144 :: v_dual_and_b32 v135, 7, v135
	s_delay_alu instid0(VALU_DEP_1) | instskip(NEXT) | instid1(VALU_DEP_2)
	v_dual_cndmask_b32 v134, v134, v135 :: v_dual_and_b32 v135, 0x80000000, v146
	v_lshl_add_u32 v144, v144, 23, 0x3b800000
	s_delay_alu instid0(VALU_DEP_2) | instskip(NEXT) | instid1(VALU_DEP_1)
	v_lshlrev_b32_e32 v134, 20, v134
	v_or3_b32 v134, v135, v144, v134
.LBB2_784:                              ;   in Loop: Header=BB2_634 Depth=2
	s_or_b32 exec_lo, exec_lo, s8
	v_and_b32_e32 v144, 0xff, v97
	s_mov_b32 s7, 0
	s_mov_b32 s18, exec_lo
                                        ; implicit-def: $sgpr8
	s_delay_alu instid0(VALU_DEP_1)
	v_cmpx_lt_i16_e64 0x7f, v144
	s_xor_b32 s18, exec_lo, s18
	s_cbranch_execnz .LBB2_946
; %bb.785:                              ;   in Loop: Header=BB2_634 Depth=2
	s_or_saveexec_b32 s18, s18
	v_mov_b32_e32 v135, s8
	s_xor_b32 exec_lo, exec_lo, s18
	s_cbranch_execnz .LBB2_949
.LBB2_786:                              ;   in Loop: Header=BB2_634 Depth=2
	s_or_b32 exec_lo, exec_lo, s18
	s_and_saveexec_b32 s8, s7
	s_cbranch_execz .LBB2_788
.LBB2_787:                              ;   in Loop: Header=BB2_634 Depth=2
	v_bfe_u32 v146, v97, 3, 4
	s_delay_alu instid0(VALU_DEP_1) | instskip(SKIP_1) | instid1(VALU_DEP_1)
	v_cmp_eq_u32_e32 vcc_lo, 0, v146
	v_and_b32_e32 v135, 7, v97
	v_clz_i32_u32_e32 v144, v135
	s_delay_alu instid0(VALU_DEP_1) | instskip(NEXT) | instid1(VALU_DEP_1)
	v_min_u32_e32 v144, 32, v144
	v_subrev_nc_u32_e32 v145, 28, v144
	v_sub_nc_u32_e32 v144, 29, v144
	s_delay_alu instid0(VALU_DEP_1) | instskip(SKIP_1) | instid1(VALU_DEP_2)
	v_dual_cndmask_b32 v144, v146, v144 :: v_dual_lshlrev_b32 v145, v145, v97
	v_lshlrev_b32_e32 v97, 24, v97
	v_and_b32_e32 v145, 7, v145
	s_delay_alu instid0(VALU_DEP_3) | instskip(NEXT) | instid1(VALU_DEP_3)
	v_lshl_add_u32 v144, v144, 23, 0x3b800000
	v_and_b32_e32 v97, 0x80000000, v97
	s_delay_alu instid0(VALU_DEP_3) | instskip(NEXT) | instid1(VALU_DEP_1)
	v_cndmask_b32_e32 v135, v135, v145, vcc_lo
	v_lshlrev_b32_e32 v135, 20, v135
	s_delay_alu instid0(VALU_DEP_1)
	v_or3_b32 v135, v97, v144, v135
.LBB2_788:                              ;   in Loop: Header=BB2_634 Depth=2
	s_or_b32 exec_lo, exec_lo, s8
	s_delay_alu instid0(VALU_DEP_1) | instskip(NEXT) | instid1(VALU_DEP_1)
	v_add_f32_e32 v134, v134, v135
	v_and_b32_e32 v97, 0x7f800000, v134
	s_delay_alu instid0(VALU_DEP_1)
	v_cmp_ne_u32_e32 vcc_lo, 0x7f800000, v97
	v_mov_b32_e32 v97, 0x80
	s_and_saveexec_b32 s8, vcc_lo
	s_cbranch_execz .LBB2_796
; %bb.789:                              ;   in Loop: Header=BB2_634 Depth=2
	v_mov_b32_e32 v97, 0
	s_mov_b32 s18, exec_lo
	v_cmpx_ne_u32_e32 0, v134
	s_cbranch_execz .LBB2_795
; %bb.790:                              ;   in Loop: Header=BB2_634 Depth=2
	v_bfe_u32 v97, v134, 23, 8
	s_delay_alu instid0(VALU_DEP_1) | instskip(SKIP_1) | instid1(VALU_DEP_2)
	v_sub_nc_u32_e32 v144, 0x78, v97
	v_cmp_gt_u32_e32 vcc_lo, 0x79, v97
	v_dual_cndmask_b32 v144, 0, v144 :: v_dual_and_b32 v135, 0x7fffff, v134
	s_delay_alu instid0(VALU_DEP_1) | instskip(SKIP_2) | instid1(VALU_DEP_4)
	v_or_b32_e32 v145, 0x800000, v135
	v_cmp_eq_u32_e32 vcc_lo, 0, v97
	v_add_nc_u32_e32 v97, 0xffffff89, v97
	v_cndmask_b32_e64 v144, v144, 0x77, vcc_lo
	s_delay_alu instid0(VALU_DEP_2) | instskip(SKIP_1) | instid1(VALU_DEP_3)
	v_cndmask_b32_e64 v97, v97, 0xffffff8a, vcc_lo
	v_cndmask_b32_e32 v135, v145, v135, vcc_lo
	v_lshl_add_u32 v145, 0x100000, v144, -1
	v_lshlrev_b32_e64 v148, v144, 0x80000
	s_delay_alu instid0(VALU_DEP_3) | instskip(SKIP_1) | instid1(VALU_DEP_4)
	v_lshrrev_b32_e32 v146, v144, v135
	v_add_nc_u32_e32 v144, v144, v97
	v_and_b32_e32 v135, v145, v135
	s_delay_alu instid0(VALU_DEP_3) | instskip(NEXT) | instid1(VALU_DEP_2)
	v_bfe_u32 v147, v146, 20, 1
	v_cmp_eq_u32_e64 s7, v135, v148
	s_delay_alu instid0(VALU_DEP_2) | instskip(NEXT) | instid1(VALU_DEP_1)
	v_add_nc_u32_e32 v145, -1, v147
	v_cndmask_b32_e64 v135, 0, v145, s7
	v_lshrrev_b32_e32 v145, 23, v146
	s_mov_b32 s7, exec_lo
	s_delay_alu instid0(VALU_DEP_2) | instskip(NEXT) | instid1(VALU_DEP_2)
	v_add_nc_u32_e32 v135, v135, v146
	v_xor_b32_e32 v145, 1, v145
	s_delay_alu instid0(VALU_DEP_2) | instskip(NEXT) | instid1(VALU_DEP_1)
	v_and_b32_e32 v97, 0xfffff, v135
	v_add_nc_u32_e32 v135, v97, v146
                                        ; implicit-def: $vgpr97
	s_delay_alu instid0(VALU_DEP_3)
	v_cmpx_ne_u32_e64 v144, v145
	s_xor_b32 s7, exec_lo, s7
; %bb.791:                              ;   in Loop: Header=BB2_634 Depth=2
	s_delay_alu instid0(VALU_DEP_2) | instskip(SKIP_2) | instid1(VALU_DEP_2)
	v_cmp_lt_u32_e32 vcc_lo, 0xffffff, v135
	v_sub_nc_u32_e32 v97, v144, v145
	v_cndmask_b32_e64 v144, 0, 1, vcc_lo
	v_add_co_ci_u32_e32 v97, vcc_lo, 0, v97, vcc_lo
	s_delay_alu instid0(VALU_DEP_2)
	v_lshrrev_b32_e32 v135, v144, v135
; %bb.792:                              ;   in Loop: Header=BB2_634 Depth=2
	s_and_not1_saveexec_b32 s7, s7
; %bb.793:                              ;   in Loop: Header=BB2_634 Depth=2
	s_delay_alu instid0(VALU_DEP_1)
	v_bfe_u32 v97, v135, 23, 1
; %bb.794:                              ;   in Loop: Header=BB2_634 Depth=2
	s_or_b32 exec_lo, exec_lo, s7
	v_lshrrev_b32_e32 v135, 20, v135
	s_delay_alu instid0(VALU_DEP_2) | instskip(SKIP_2) | instid1(VALU_DEP_2)
	v_cmp_gt_i32_e32 vcc_lo, 16, v97
	v_lshrrev_b32_e32 v134, 24, v134
	v_min_i32_e32 v144, 15, v97
	v_dual_cndmask_b32 v135, 7, v135 :: v_dual_and_b32 v134, 0x80, v134
	s_delay_alu instid0(VALU_DEP_1) | instskip(SKIP_1) | instid1(VALU_DEP_2)
	v_or_b32_e32 v97, v97, v135
	v_and_b32_e32 v145, 7, v135
	v_cmp_ne_u32_e32 vcc_lo, 0, v97
	v_lshlrev_b32_e32 v144, 3, v144
	s_delay_alu instid0(VALU_DEP_1) | instskip(NEXT) | instid1(VALU_DEP_1)
	v_or3_b32 v134, v144, v134, v145
	v_cndmask_b32_e32 v97, 0, v134, vcc_lo
.LBB2_795:                              ;   in Loop: Header=BB2_634 Depth=2
	s_or_b32 exec_lo, exec_lo, s18
.LBB2_796:                              ;   in Loop: Header=BB2_634 Depth=2
	s_delay_alu instid0(SALU_CYCLE_1) | instskip(SKIP_3) | instid1(VALU_DEP_1)
	s_or_b32 exec_lo, exec_lo, s8
	v_lshrrev_b32_e32 v135, 24, v17
	s_mov_b32 s7, 0
	s_mov_b32 s18, exec_lo
                                        ; implicit-def: $sgpr8
	v_cmpx_lt_i16_e64 0x7f, v135
	s_xor_b32 s18, exec_lo, s18
	s_cbranch_execnz .LBB2_950
; %bb.797:                              ;   in Loop: Header=BB2_634 Depth=2
	s_or_saveexec_b32 s18, s18
	v_mov_b32_e32 v134, s8
	s_xor_b32 exec_lo, exec_lo, s18
	s_cbranch_execnz .LBB2_953
.LBB2_798:                              ;   in Loop: Header=BB2_634 Depth=2
	s_or_b32 exec_lo, exec_lo, s18
	s_and_saveexec_b32 s8, s7
	s_cbranch_execz .LBB2_800
.LBB2_799:                              ;   in Loop: Header=BB2_634 Depth=2
	v_bfe_u32 v134, v17, 24, 3
	s_delay_alu instid0(VALU_DEP_1) | instskip(NEXT) | instid1(VALU_DEP_1)
	v_clz_i32_u32_e32 v144, v134
	v_min_u32_e32 v144, 32, v144
	s_delay_alu instid0(VALU_DEP_1) | instskip(SKIP_1) | instid1(VALU_DEP_2)
	v_subrev_nc_u32_e32 v145, 28, v144
	v_sub_nc_u32_e32 v144, 29, v144
	v_lshlrev_b32_e32 v135, v145, v135
	v_bfe_u32 v145, v17, 27, 4
	v_and_b32_e32 v17, 0x80000000, v17
	s_delay_alu instid0(VALU_DEP_2) | instskip(NEXT) | instid1(VALU_DEP_4)
	v_cmp_eq_u32_e32 vcc_lo, 0, v145
	v_dual_cndmask_b32 v144, v145, v144 :: v_dual_and_b32 v135, 7, v135
	s_delay_alu instid0(VALU_DEP_1) | instskip(NEXT) | instid1(VALU_DEP_2)
	v_cndmask_b32_e32 v134, v134, v135, vcc_lo
	v_lshl_add_u32 v135, v144, 23, 0x3b800000
	s_delay_alu instid0(VALU_DEP_2) | instskip(NEXT) | instid1(VALU_DEP_1)
	v_lshlrev_b32_e32 v134, 20, v134
	v_or3_b32 v134, v17, v135, v134
.LBB2_800:                              ;   in Loop: Header=BB2_634 Depth=2
	s_or_b32 exec_lo, exec_lo, s8
	v_and_b32_e32 v17, 0xff, v96
	s_mov_b32 s7, 0
	s_mov_b32 s18, exec_lo
                                        ; implicit-def: $sgpr8
	s_delay_alu instid0(VALU_DEP_1)
	v_cmpx_lt_i16_e32 0x7f, v17
	s_xor_b32 s18, exec_lo, s18
	s_cbranch_execnz .LBB2_954
; %bb.801:                              ;   in Loop: Header=BB2_634 Depth=2
	s_or_saveexec_b32 s18, s18
	v_mov_b32_e32 v135, s8
	s_xor_b32 exec_lo, exec_lo, s18
	s_cbranch_execnz .LBB2_957
.LBB2_802:                              ;   in Loop: Header=BB2_634 Depth=2
	s_or_b32 exec_lo, exec_lo, s18
	s_and_saveexec_b32 s8, s7
	s_cbranch_execz .LBB2_804
.LBB2_803:                              ;   in Loop: Header=BB2_634 Depth=2
	v_lshlrev_b32_e32 v96, 8, v96
	s_delay_alu instid0(VALU_DEP_1) | instskip(SKIP_1) | instid1(VALU_DEP_2)
	v_and_b32_e32 v135, 0xff00, v96
	v_bfe_u32 v96, v96, 11, 4
	v_bfe_u32 v144, v135, 8, 3
	s_delay_alu instid0(VALU_DEP_2) | instskip(NEXT) | instid1(VALU_DEP_2)
	v_cmp_eq_u32_e32 vcc_lo, 0, v96
	v_clz_i32_u32_e32 v145, v144
	s_delay_alu instid0(VALU_DEP_1) | instskip(NEXT) | instid1(VALU_DEP_1)
	v_min_u32_e32 v145, 32, v145
	v_subrev_nc_u32_e32 v146, 28, v145
	v_sub_nc_u32_e32 v145, 29, v145
	s_delay_alu instid0(VALU_DEP_2) | instskip(NEXT) | instid1(VALU_DEP_2)
	v_lshlrev_b32_e32 v17, v146, v17
	v_dual_cndmask_b32 v96, v96, v145 :: v_dual_lshlrev_b32 v135, 16, v135
	s_delay_alu instid0(VALU_DEP_2) | instskip(NEXT) | instid1(VALU_DEP_2)
	v_and_b32_e32 v17, 7, v17
	v_lshl_add_u32 v96, v96, 23, 0x3b800000
	s_delay_alu instid0(VALU_DEP_3) | instskip(NEXT) | instid1(VALU_DEP_3)
	v_and_b32_e32 v135, 0x80000000, v135
	v_cndmask_b32_e32 v17, v144, v17, vcc_lo
	s_delay_alu instid0(VALU_DEP_1) | instskip(NEXT) | instid1(VALU_DEP_1)
	v_lshlrev_b32_e32 v17, 20, v17
	v_or3_b32 v135, v135, v96, v17
.LBB2_804:                              ;   in Loop: Header=BB2_634 Depth=2
	s_or_b32 exec_lo, exec_lo, s8
	s_delay_alu instid0(VALU_DEP_1) | instskip(NEXT) | instid1(VALU_DEP_1)
	v_add_f32_e32 v96, v134, v135
	v_and_b32_e32 v17, 0x7f800000, v96
	s_delay_alu instid0(VALU_DEP_1)
	v_cmp_ne_u32_e32 vcc_lo, 0x7f800000, v17
	v_mov_b32_e32 v17, 0x80
	s_and_saveexec_b32 s8, vcc_lo
	s_cbranch_execz .LBB2_812
; %bb.805:                              ;   in Loop: Header=BB2_634 Depth=2
	v_mov_b32_e32 v17, 0
	s_mov_b32 s18, exec_lo
	v_cmpx_ne_u32_e32 0, v96
	s_cbranch_execz .LBB2_811
; %bb.806:                              ;   in Loop: Header=BB2_634 Depth=2
	v_bfe_u32 v17, v96, 23, 8
	s_delay_alu instid0(VALU_DEP_1) | instskip(SKIP_1) | instid1(VALU_DEP_2)
	v_sub_nc_u32_e32 v135, 0x78, v17
	v_cmp_gt_u32_e32 vcc_lo, 0x79, v17
	v_dual_cndmask_b32 v135, 0, v135 :: v_dual_and_b32 v134, 0x7fffff, v96
	s_delay_alu instid0(VALU_DEP_1) | instskip(SKIP_2) | instid1(VALU_DEP_4)
	v_or_b32_e32 v144, 0x800000, v134
	v_cmp_eq_u32_e32 vcc_lo, 0, v17
	v_add_nc_u32_e32 v17, 0xffffff89, v17
	v_cndmask_b32_e64 v135, v135, 0x77, vcc_lo
	s_delay_alu instid0(VALU_DEP_4) | instskip(NEXT) | instid1(VALU_DEP_3)
	v_cndmask_b32_e32 v134, v144, v134, vcc_lo
	v_cndmask_b32_e64 v17, v17, 0xffffff8a, vcc_lo
	s_delay_alu instid0(VALU_DEP_3) | instskip(NEXT) | instid1(VALU_DEP_3)
	v_lshl_add_u32 v144, 0x100000, v135, -1
	v_lshrrev_b32_e32 v145, v135, v134
	v_lshlrev_b32_e64 v147, v135, 0x80000
	s_delay_alu instid0(VALU_DEP_4) | instskip(NEXT) | instid1(VALU_DEP_4)
	v_add_nc_u32_e32 v135, v135, v17
	v_and_b32_e32 v134, v144, v134
	s_delay_alu instid0(VALU_DEP_4) | instskip(NEXT) | instid1(VALU_DEP_2)
	v_bfe_u32 v146, v145, 20, 1
	v_cmp_eq_u32_e64 s7, v134, v147
	s_delay_alu instid0(VALU_DEP_2) | instskip(NEXT) | instid1(VALU_DEP_1)
	v_add_nc_u32_e32 v144, -1, v146
	v_cndmask_b32_e64 v134, 0, v144, s7
	v_lshrrev_b32_e32 v144, 23, v145
	s_mov_b32 s7, exec_lo
	s_delay_alu instid0(VALU_DEP_2) | instskip(NEXT) | instid1(VALU_DEP_2)
	v_add_nc_u32_e32 v134, v134, v145
	v_xor_b32_e32 v144, 1, v144
	s_delay_alu instid0(VALU_DEP_2) | instskip(NEXT) | instid1(VALU_DEP_1)
	v_and_b32_e32 v17, 0xfffff, v134
	v_add_nc_u32_e32 v134, v17, v145
                                        ; implicit-def: $vgpr17
	s_delay_alu instid0(VALU_DEP_3)
	v_cmpx_ne_u32_e64 v135, v144
	s_xor_b32 s7, exec_lo, s7
; %bb.807:                              ;   in Loop: Header=BB2_634 Depth=2
	s_delay_alu instid0(VALU_DEP_2) | instskip(SKIP_2) | instid1(VALU_DEP_2)
	v_cmp_lt_u32_e32 vcc_lo, 0xffffff, v134
	v_sub_nc_u32_e32 v17, v135, v144
	v_cndmask_b32_e64 v135, 0, 1, vcc_lo
	v_add_co_ci_u32_e32 v17, vcc_lo, 0, v17, vcc_lo
	s_delay_alu instid0(VALU_DEP_2)
	v_lshrrev_b32_e32 v134, v135, v134
; %bb.808:                              ;   in Loop: Header=BB2_634 Depth=2
	s_and_not1_saveexec_b32 s7, s7
; %bb.809:                              ;   in Loop: Header=BB2_634 Depth=2
	s_delay_alu instid0(VALU_DEP_1)
	v_bfe_u32 v17, v134, 23, 1
; %bb.810:                              ;   in Loop: Header=BB2_634 Depth=2
	s_or_b32 exec_lo, exec_lo, s7
	v_lshrrev_b32_e32 v134, 20, v134
	s_delay_alu instid0(VALU_DEP_2) | instskip(SKIP_2) | instid1(VALU_DEP_2)
	v_cmp_gt_i32_e32 vcc_lo, 16, v17
	v_min_i32_e32 v135, 15, v17
	v_lshrrev_b32_e32 v96, 24, v96
	v_dual_cndmask_b32 v134, 7, v134 :: v_dual_lshlrev_b32 v135, 3, v135
	s_delay_alu instid0(VALU_DEP_2) | instskip(NEXT) | instid1(VALU_DEP_2)
	v_and_b32_e32 v96, 0x80, v96
	v_or_b32_e32 v17, v17, v134
	s_delay_alu instid0(VALU_DEP_1) | instskip(SKIP_1) | instid1(VALU_DEP_1)
	v_cmp_ne_u32_e32 vcc_lo, 0, v17
	v_and_b32_e32 v144, 7, v134
	v_or3_b32 v96, v135, v96, v144
	s_delay_alu instid0(VALU_DEP_1)
	v_cndmask_b32_e32 v17, 0, v96, vcc_lo
.LBB2_811:                              ;   in Loop: Header=BB2_634 Depth=2
	s_or_b32 exec_lo, exec_lo, s18
.LBB2_812:                              ;   in Loop: Header=BB2_634 Depth=2
	s_delay_alu instid0(SALU_CYCLE_1) | instskip(SKIP_3) | instid1(VALU_DEP_1)
	s_or_b32 exec_lo, exec_lo, s8
	v_and_b32_e32 v96, 0xff, v19
	s_mov_b32 s7, 0
	s_mov_b32 s18, exec_lo
                                        ; implicit-def: $sgpr8
	v_cmpx_lt_i16_e32 0x7f, v96
	s_xor_b32 s18, exec_lo, s18
	s_cbranch_execnz .LBB2_958
; %bb.813:                              ;   in Loop: Header=BB2_634 Depth=2
	s_or_saveexec_b32 s18, s18
	v_mov_b32_e32 v134, s8
	s_xor_b32 exec_lo, exec_lo, s18
	s_cbranch_execnz .LBB2_961
.LBB2_814:                              ;   in Loop: Header=BB2_634 Depth=2
	s_or_b32 exec_lo, exec_lo, s18
	s_and_saveexec_b32 s8, s7
	s_cbranch_execz .LBB2_816
.LBB2_815:                              ;   in Loop: Header=BB2_634 Depth=2
	v_and_b32_e32 v96, 7, v19
	v_bfe_u32 v144, v19, 3, 4
	v_lshlrev_b32_e32 v145, 24, v19
	s_delay_alu instid0(VALU_DEP_3) | instskip(NEXT) | instid1(VALU_DEP_3)
	v_clz_i32_u32_e32 v134, v96
	v_cmp_eq_u32_e32 vcc_lo, 0, v144
	s_delay_alu instid0(VALU_DEP_2) | instskip(NEXT) | instid1(VALU_DEP_1)
	v_min_u32_e32 v134, 32, v134
	v_subrev_nc_u32_e32 v135, 28, v134
	v_sub_nc_u32_e32 v134, 29, v134
	s_delay_alu instid0(VALU_DEP_1) | instskip(NEXT) | instid1(VALU_DEP_1)
	v_dual_cndmask_b32 v134, v144, v134 :: v_dual_lshlrev_b32 v135, v135, v19
	v_and_b32_e32 v135, 7, v135
	s_delay_alu instid0(VALU_DEP_2) | instskip(NEXT) | instid1(VALU_DEP_2)
	v_lshl_add_u32 v134, v134, 23, 0x3b800000
	v_dual_cndmask_b32 v96, v96, v135 :: v_dual_and_b32 v135, 0x80000000, v145
	s_delay_alu instid0(VALU_DEP_1) | instskip(NEXT) | instid1(VALU_DEP_1)
	v_lshlrev_b32_e32 v96, 20, v96
	v_or3_b32 v134, v135, v134, v96
.LBB2_816:                              ;   in Loop: Header=BB2_634 Depth=2
	s_or_b32 exec_lo, exec_lo, s8
	v_or_b32_e32 v133, v133, v81
	v_mov_b32_e32 v96, v19
	s_mov_b32 s7, 0
	s_mov_b32 s18, exec_lo
                                        ; implicit-def: $sgpr8
	s_delay_alu instid0(VALU_DEP_2) | instskip(NEXT) | instid1(VALU_DEP_1)
	v_and_b32_e32 v135, 0xff, v133
	v_cmpx_lt_i16_e64 0x7f, v135
	s_xor_b32 s18, exec_lo, s18
	s_cbranch_execnz .LBB2_962
; %bb.817:                              ;   in Loop: Header=BB2_634 Depth=2
	s_or_saveexec_b32 s18, s18
	v_mov_b32_e32 v81, s8
	s_xor_b32 exec_lo, exec_lo, s18
	s_cbranch_execnz .LBB2_965
.LBB2_818:                              ;   in Loop: Header=BB2_634 Depth=2
	s_or_b32 exec_lo, exec_lo, s18
	s_and_saveexec_b32 s8, s7
	s_cbranch_execz .LBB2_820
.LBB2_819:                              ;   in Loop: Header=BB2_634 Depth=2
	v_and_b32_e32 v81, 7, v133
	v_bfe_u32 v145, v133, 3, 4
	s_delay_alu instid0(VALU_DEP_2) | instskip(NEXT) | instid1(VALU_DEP_2)
	v_clz_i32_u32_e32 v135, v81
	v_cmp_eq_u32_e32 vcc_lo, 0, v145
	s_delay_alu instid0(VALU_DEP_2) | instskip(NEXT) | instid1(VALU_DEP_1)
	v_min_u32_e32 v135, 32, v135
	v_subrev_nc_u32_e32 v144, 28, v135
	v_sub_nc_u32_e32 v135, 29, v135
	s_delay_alu instid0(VALU_DEP_1) | instskip(NEXT) | instid1(VALU_DEP_1)
	v_dual_cndmask_b32 v135, v145, v135 :: v_dual_lshlrev_b32 v144, v144, v133
	v_and_b32_e32 v144, 7, v144
	v_lshlrev_b32_e32 v146, 24, v133
	s_delay_alu instid0(VALU_DEP_3) | instskip(NEXT) | instid1(VALU_DEP_2)
	v_lshl_add_u32 v135, v135, 23, 0x3b800000
	v_dual_cndmask_b32 v81, v81, v144 :: v_dual_and_b32 v144, 0x80000000, v146
	s_delay_alu instid0(VALU_DEP_1) | instskip(NEXT) | instid1(VALU_DEP_1)
	v_lshlrev_b32_e32 v81, 20, v81
	v_or3_b32 v81, v144, v135, v81
.LBB2_820:                              ;   in Loop: Header=BB2_634 Depth=2
	s_or_b32 exec_lo, exec_lo, s8
	s_delay_alu instid0(VALU_DEP_1) | instskip(NEXT) | instid1(VALU_DEP_1)
	v_add_f32_e32 v134, v134, v81
	v_and_b32_e32 v81, 0x7f800000, v134
	s_delay_alu instid0(VALU_DEP_1)
	v_cmp_ne_u32_e32 vcc_lo, 0x7f800000, v81
	v_mov_b32_e32 v81, 0x80
	s_and_saveexec_b32 s8, vcc_lo
	s_cbranch_execz .LBB2_828
; %bb.821:                              ;   in Loop: Header=BB2_634 Depth=2
	v_mov_b32_e32 v81, 0
	s_mov_b32 s18, exec_lo
	v_cmpx_ne_u32_e32 0, v134
	s_cbranch_execz .LBB2_827
; %bb.822:                              ;   in Loop: Header=BB2_634 Depth=2
	v_bfe_u32 v81, v134, 23, 8
	s_delay_alu instid0(VALU_DEP_1) | instskip(SKIP_1) | instid1(VALU_DEP_2)
	v_sub_nc_u32_e32 v144, 0x78, v81
	v_cmp_gt_u32_e32 vcc_lo, 0x79, v81
	v_dual_cndmask_b32 v144, 0, v144 :: v_dual_and_b32 v135, 0x7fffff, v134
	s_delay_alu instid0(VALU_DEP_1) | instskip(SKIP_2) | instid1(VALU_DEP_4)
	v_or_b32_e32 v145, 0x800000, v135
	v_cmp_eq_u32_e32 vcc_lo, 0, v81
	v_add_nc_u32_e32 v81, 0xffffff89, v81
	v_cndmask_b32_e64 v144, v144, 0x77, vcc_lo
	s_delay_alu instid0(VALU_DEP_2) | instskip(SKIP_1) | instid1(VALU_DEP_3)
	v_cndmask_b32_e64 v81, v81, 0xffffff8a, vcc_lo
	v_cndmask_b32_e32 v135, v145, v135, vcc_lo
	v_lshl_add_u32 v145, 0x100000, v144, -1
	v_lshlrev_b32_e64 v148, v144, 0x80000
	s_delay_alu instid0(VALU_DEP_3) | instskip(SKIP_1) | instid1(VALU_DEP_4)
	v_lshrrev_b32_e32 v146, v144, v135
	v_add_nc_u32_e32 v144, v144, v81
	v_and_b32_e32 v135, v145, v135
	s_delay_alu instid0(VALU_DEP_3) | instskip(NEXT) | instid1(VALU_DEP_2)
	v_bfe_u32 v147, v146, 20, 1
	v_cmp_eq_u32_e64 s7, v135, v148
	s_delay_alu instid0(VALU_DEP_2) | instskip(NEXT) | instid1(VALU_DEP_1)
	v_add_nc_u32_e32 v145, -1, v147
	v_cndmask_b32_e64 v135, 0, v145, s7
	v_lshrrev_b32_e32 v145, 23, v146
	s_mov_b32 s7, exec_lo
	s_delay_alu instid0(VALU_DEP_2) | instskip(NEXT) | instid1(VALU_DEP_2)
	v_add_nc_u32_e32 v135, v135, v146
	v_xor_b32_e32 v145, 1, v145
	s_delay_alu instid0(VALU_DEP_2) | instskip(NEXT) | instid1(VALU_DEP_1)
	v_and_b32_e32 v81, 0xfffff, v135
	v_add_nc_u32_e32 v135, v81, v146
                                        ; implicit-def: $vgpr81
	s_delay_alu instid0(VALU_DEP_3)
	v_cmpx_ne_u32_e64 v144, v145
	s_xor_b32 s7, exec_lo, s7
; %bb.823:                              ;   in Loop: Header=BB2_634 Depth=2
	s_delay_alu instid0(VALU_DEP_2) | instskip(SKIP_2) | instid1(VALU_DEP_2)
	v_cmp_lt_u32_e32 vcc_lo, 0xffffff, v135
	v_sub_nc_u32_e32 v81, v144, v145
	v_cndmask_b32_e64 v144, 0, 1, vcc_lo
	v_add_co_ci_u32_e32 v81, vcc_lo, 0, v81, vcc_lo
	s_delay_alu instid0(VALU_DEP_2)
	v_lshrrev_b32_e32 v135, v144, v135
; %bb.824:                              ;   in Loop: Header=BB2_634 Depth=2
	s_and_not1_saveexec_b32 s7, s7
; %bb.825:                              ;   in Loop: Header=BB2_634 Depth=2
	s_delay_alu instid0(VALU_DEP_1)
	v_bfe_u32 v81, v135, 23, 1
; %bb.826:                              ;   in Loop: Header=BB2_634 Depth=2
	s_or_b32 exec_lo, exec_lo, s7
	v_lshrrev_b32_e32 v135, 20, v135
	s_delay_alu instid0(VALU_DEP_2) | instskip(SKIP_2) | instid1(VALU_DEP_2)
	v_cmp_gt_i32_e32 vcc_lo, 16, v81
	v_lshrrev_b32_e32 v134, 24, v134
	v_min_i32_e32 v144, 15, v81
	v_dual_cndmask_b32 v135, 7, v135 :: v_dual_and_b32 v134, 0x80, v134
	s_delay_alu instid0(VALU_DEP_1) | instskip(SKIP_1) | instid1(VALU_DEP_2)
	v_or_b32_e32 v81, v81, v135
	v_and_b32_e32 v145, 7, v135
	v_cmp_ne_u32_e32 vcc_lo, 0, v81
	v_lshlrev_b32_e32 v144, 3, v144
	s_delay_alu instid0(VALU_DEP_1) | instskip(NEXT) | instid1(VALU_DEP_1)
	v_or3_b32 v134, v144, v134, v145
	v_cndmask_b32_e32 v81, 0, v134, vcc_lo
.LBB2_827:                              ;   in Loop: Header=BB2_634 Depth=2
	s_or_b32 exec_lo, exec_lo, s18
.LBB2_828:                              ;   in Loop: Header=BB2_634 Depth=2
	s_delay_alu instid0(SALU_CYCLE_1) | instskip(SKIP_3) | instid1(VALU_DEP_1)
	s_or_b32 exec_lo, exec_lo, s8
	v_lshrrev_b16 v134, 8, v96
	s_mov_b32 s7, 0
	s_mov_b32 s18, exec_lo
                                        ; implicit-def: $sgpr8
	v_cmpx_lt_i16_e64 0x7f, v134
	s_xor_b32 s18, exec_lo, s18
	s_cbranch_execnz .LBB2_966
; %bb.829:                              ;   in Loop: Header=BB2_634 Depth=2
	s_or_saveexec_b32 s18, s18
	v_mov_b32_e32 v96, s8
	s_xor_b32 exec_lo, exec_lo, s18
	s_cbranch_execnz .LBB2_969
.LBB2_830:                              ;   in Loop: Header=BB2_634 Depth=2
	s_or_b32 exec_lo, exec_lo, s18
	s_and_saveexec_b32 s8, s7
	s_cbranch_execz .LBB2_832
.LBB2_831:                              ;   in Loop: Header=BB2_634 Depth=2
	v_and_b32_e32 v96, 0xffff, v134
	v_lshlrev_b32_e32 v134, 24, v134
	s_delay_alu instid0(VALU_DEP_2) | instskip(NEXT) | instid1(VALU_DEP_2)
	v_and_b32_e32 v135, 7, v96
	v_and_b32_e32 v134, 0x80000000, v134
	s_delay_alu instid0(VALU_DEP_2) | instskip(NEXT) | instid1(VALU_DEP_1)
	v_clz_i32_u32_e32 v144, v135
	v_min_u32_e32 v144, 32, v144
	s_delay_alu instid0(VALU_DEP_1) | instskip(SKIP_1) | instid1(VALU_DEP_2)
	v_subrev_nc_u32_e32 v145, 28, v144
	v_sub_nc_u32_e32 v144, 29, v144
	v_lshlrev_b32_e32 v145, v145, v96
	v_bfe_u32 v96, v96, 3, 4
	s_delay_alu instid0(VALU_DEP_1) | instskip(NEXT) | instid1(VALU_DEP_3)
	v_cmp_eq_u32_e32 vcc_lo, 0, v96
	v_dual_cndmask_b32 v96, v96, v144 :: v_dual_and_b32 v145, 7, v145
	s_delay_alu instid0(VALU_DEP_1) | instskip(NEXT) | instid1(VALU_DEP_2)
	v_cndmask_b32_e32 v135, v135, v145, vcc_lo
	v_lshl_add_u32 v96, v96, 23, 0x3b800000
	s_delay_alu instid0(VALU_DEP_2) | instskip(NEXT) | instid1(VALU_DEP_1)
	v_lshlrev_b32_e32 v135, 20, v135
	v_or3_b32 v96, v134, v96, v135
.LBB2_832:                              ;   in Loop: Header=BB2_634 Depth=2
	s_or_b32 exec_lo, exec_lo, s8
	v_lshrrev_b16 v134, 8, v133
	s_mov_b32 s7, 0
	s_mov_b32 s18, exec_lo
                                        ; implicit-def: $sgpr8
	s_delay_alu instid0(VALU_DEP_1)
	v_cmpx_lt_i16_e64 0x7f, v134
	s_xor_b32 s18, exec_lo, s18
	s_cbranch_execnz .LBB2_970
; %bb.833:                              ;   in Loop: Header=BB2_634 Depth=2
	s_or_saveexec_b32 s18, s18
	v_mov_b32_e32 v135, s8
	s_xor_b32 exec_lo, exec_lo, s18
	s_cbranch_execnz .LBB2_973
.LBB2_834:                              ;   in Loop: Header=BB2_634 Depth=2
	s_or_b32 exec_lo, exec_lo, s18
	s_and_saveexec_b32 s8, s7
	s_cbranch_execz .LBB2_836
.LBB2_835:                              ;   in Loop: Header=BB2_634 Depth=2
	v_and_b32_e32 v135, 0xffff, v134
	v_lshlrev_b32_e32 v134, 24, v134
	s_delay_alu instid0(VALU_DEP_2) | instskip(NEXT) | instid1(VALU_DEP_2)
	v_and_b32_e32 v144, 7, v135
	v_and_b32_e32 v134, 0x80000000, v134
	s_delay_alu instid0(VALU_DEP_2) | instskip(NEXT) | instid1(VALU_DEP_1)
	v_clz_i32_u32_e32 v145, v144
	v_min_u32_e32 v145, 32, v145
	s_delay_alu instid0(VALU_DEP_1) | instskip(SKIP_1) | instid1(VALU_DEP_2)
	v_subrev_nc_u32_e32 v146, 28, v145
	v_sub_nc_u32_e32 v145, 29, v145
	v_lshlrev_b32_e32 v146, v146, v135
	v_bfe_u32 v135, v135, 3, 4
	s_delay_alu instid0(VALU_DEP_2) | instskip(NEXT) | instid1(VALU_DEP_2)
	v_and_b32_e32 v146, 7, v146
	v_cmp_eq_u32_e32 vcc_lo, 0, v135
	s_delay_alu instid0(VALU_DEP_2) | instskip(NEXT) | instid1(VALU_DEP_1)
	v_dual_cndmask_b32 v135, v135, v145 :: v_dual_cndmask_b32 v144, v144, v146
	v_lshl_add_u32 v135, v135, 23, 0x3b800000
	s_delay_alu instid0(VALU_DEP_2) | instskip(NEXT) | instid1(VALU_DEP_1)
	v_lshlrev_b32_e32 v144, 20, v144
	v_or3_b32 v135, v134, v135, v144
.LBB2_836:                              ;   in Loop: Header=BB2_634 Depth=2
	s_or_b32 exec_lo, exec_lo, s8
	s_delay_alu instid0(VALU_DEP_1) | instskip(NEXT) | instid1(VALU_DEP_1)
	v_add_f32_e32 v134, v96, v135
	v_and_b32_e32 v96, 0x7f800000, v134
	s_delay_alu instid0(VALU_DEP_1)
	v_cmp_ne_u32_e32 vcc_lo, 0x7f800000, v96
	v_mov_b32_e32 v96, 0x8000
	s_and_saveexec_b32 s8, vcc_lo
	s_cbranch_execz .LBB2_844
; %bb.837:                              ;   in Loop: Header=BB2_634 Depth=2
	v_mov_b32_e32 v96, 0
	s_mov_b32 s18, exec_lo
	v_cmpx_ne_u32_e32 0, v134
	s_cbranch_execz .LBB2_843
; %bb.838:                              ;   in Loop: Header=BB2_634 Depth=2
	v_bfe_u32 v96, v134, 23, 8
	s_delay_alu instid0(VALU_DEP_1) | instskip(SKIP_1) | instid1(VALU_DEP_2)
	v_sub_nc_u32_e32 v144, 0x78, v96
	v_cmp_gt_u32_e32 vcc_lo, 0x79, v96
	v_dual_cndmask_b32 v144, 0, v144 :: v_dual_and_b32 v135, 0x7fffff, v134
	s_delay_alu instid0(VALU_DEP_1) | instskip(SKIP_2) | instid1(VALU_DEP_4)
	v_or_b32_e32 v145, 0x800000, v135
	v_cmp_eq_u32_e32 vcc_lo, 0, v96
	v_add_nc_u32_e32 v96, 0xffffff89, v96
	v_cndmask_b32_e64 v144, v144, 0x77, vcc_lo
	s_delay_alu instid0(VALU_DEP_4) | instskip(NEXT) | instid1(VALU_DEP_3)
	v_cndmask_b32_e32 v135, v145, v135, vcc_lo
	v_cndmask_b32_e64 v96, v96, 0xffffff8a, vcc_lo
	s_delay_alu instid0(VALU_DEP_3) | instskip(NEXT) | instid1(VALU_DEP_3)
	v_lshl_add_u32 v145, 0x100000, v144, -1
	v_lshrrev_b32_e32 v146, v144, v135
	v_lshlrev_b32_e64 v148, v144, 0x80000
	s_delay_alu instid0(VALU_DEP_4) | instskip(NEXT) | instid1(VALU_DEP_4)
	v_add_nc_u32_e32 v144, v144, v96
	v_and_b32_e32 v135, v145, v135
	s_delay_alu instid0(VALU_DEP_4) | instskip(NEXT) | instid1(VALU_DEP_2)
	v_bfe_u32 v147, v146, 20, 1
	v_cmp_eq_u32_e64 s7, v135, v148
	s_delay_alu instid0(VALU_DEP_2) | instskip(NEXT) | instid1(VALU_DEP_1)
	v_add_nc_u32_e32 v145, -1, v147
	v_cndmask_b32_e64 v135, 0, v145, s7
	v_lshrrev_b32_e32 v145, 23, v146
	s_mov_b32 s7, exec_lo
	s_delay_alu instid0(VALU_DEP_2) | instskip(NEXT) | instid1(VALU_DEP_2)
	v_add_nc_u32_e32 v135, v135, v146
	v_xor_b32_e32 v145, 1, v145
	s_delay_alu instid0(VALU_DEP_2) | instskip(NEXT) | instid1(VALU_DEP_1)
	v_and_b32_e32 v96, 0xfffff, v135
	v_add_nc_u32_e32 v135, v96, v146
                                        ; implicit-def: $vgpr96
	s_delay_alu instid0(VALU_DEP_3)
	v_cmpx_ne_u32_e64 v144, v145
	s_xor_b32 s7, exec_lo, s7
; %bb.839:                              ;   in Loop: Header=BB2_634 Depth=2
	s_delay_alu instid0(VALU_DEP_2) | instskip(SKIP_2) | instid1(VALU_DEP_2)
	v_cmp_lt_u32_e32 vcc_lo, 0xffffff, v135
	v_sub_nc_u32_e32 v96, v144, v145
	v_cndmask_b32_e64 v144, 0, 1, vcc_lo
	v_add_co_ci_u32_e32 v96, vcc_lo, 0, v96, vcc_lo
	s_delay_alu instid0(VALU_DEP_2)
	v_lshrrev_b32_e32 v135, v144, v135
; %bb.840:                              ;   in Loop: Header=BB2_634 Depth=2
	s_and_not1_saveexec_b32 s7, s7
; %bb.841:                              ;   in Loop: Header=BB2_634 Depth=2
	s_delay_alu instid0(VALU_DEP_1)
	v_bfe_u32 v96, v135, 23, 1
; %bb.842:                              ;   in Loop: Header=BB2_634 Depth=2
	s_or_b32 exec_lo, exec_lo, s7
	v_lshrrev_b32_e32 v135, 20, v135
	s_delay_alu instid0(VALU_DEP_2) | instskip(SKIP_2) | instid1(VALU_DEP_2)
	v_cmp_gt_i32_e32 vcc_lo, 16, v96
	v_min_i32_e32 v144, 15, v96
	v_lshrrev_b32_e32 v134, 24, v134
	v_dual_cndmask_b32 v135, 7, v135 :: v_dual_lshlrev_b32 v144, 3, v144
	s_delay_alu instid0(VALU_DEP_2) | instskip(NEXT) | instid1(VALU_DEP_2)
	v_and_b32_e32 v134, 0x80, v134
	v_or_b32_e32 v96, v96, v135
	s_delay_alu instid0(VALU_DEP_3) | instskip(NEXT) | instid1(VALU_DEP_2)
	v_and_b32_e32 v144, 0xf8, v144
	v_cmp_ne_u32_e32 vcc_lo, 0, v96
	v_and_b32_e32 v145, 7, v135
	s_delay_alu instid0(VALU_DEP_1) | instskip(NEXT) | instid1(VALU_DEP_1)
	v_or3_b32 v134, v134, v144, v145
	v_lshlrev_b32_e32 v134, 8, v134
	s_delay_alu instid0(VALU_DEP_1)
	v_cndmask_b32_e32 v96, 0, v134, vcc_lo
.LBB2_843:                              ;   in Loop: Header=BB2_634 Depth=2
	s_or_b32 exec_lo, exec_lo, s18
.LBB2_844:                              ;   in Loop: Header=BB2_634 Depth=2
	s_delay_alu instid0(SALU_CYCLE_1) | instskip(SKIP_3) | instid1(VALU_DEP_1)
	s_or_b32 exec_lo, exec_lo, s8
	v_lshrrev_b32_e32 v135, 16, v19
	s_mov_b32 s7, 0
	s_mov_b32 s18, exec_lo
                                        ; implicit-def: $sgpr8
	v_and_b32_e32 v144, 0xff, v135
	s_delay_alu instid0(VALU_DEP_1)
	v_cmpx_lt_i16_e64 0x7f, v144
	s_xor_b32 s18, exec_lo, s18
	s_cbranch_execnz .LBB2_974
; %bb.845:                              ;   in Loop: Header=BB2_634 Depth=2
	s_or_saveexec_b32 s18, s18
	v_mov_b32_e32 v134, s8
	s_xor_b32 exec_lo, exec_lo, s18
	s_cbranch_execnz .LBB2_977
.LBB2_846:                              ;   in Loop: Header=BB2_634 Depth=2
	s_or_b32 exec_lo, exec_lo, s18
	s_and_saveexec_b32 s8, s7
	s_cbranch_execz .LBB2_848
.LBB2_847:                              ;   in Loop: Header=BB2_634 Depth=2
	v_bfe_u32 v134, v19, 16, 3
	v_lshlrev_b32_e32 v146, 8, v19
	s_delay_alu instid0(VALU_DEP_2) | instskip(NEXT) | instid1(VALU_DEP_1)
	v_clz_i32_u32_e32 v144, v134
	v_min_u32_e32 v144, 32, v144
	s_delay_alu instid0(VALU_DEP_1) | instskip(SKIP_1) | instid1(VALU_DEP_2)
	v_subrev_nc_u32_e32 v145, 28, v144
	v_sub_nc_u32_e32 v144, 29, v144
	v_lshlrev_b32_e32 v135, v145, v135
	v_bfe_u32 v145, v19, 19, 4
	s_delay_alu instid0(VALU_DEP_1) | instskip(NEXT) | instid1(VALU_DEP_3)
	v_cmp_eq_u32_e32 vcc_lo, 0, v145
	v_dual_cndmask_b32 v144, v145, v144 :: v_dual_and_b32 v135, 7, v135
	s_delay_alu instid0(VALU_DEP_1) | instskip(NEXT) | instid1(VALU_DEP_2)
	v_dual_cndmask_b32 v134, v134, v135 :: v_dual_and_b32 v135, 0x80000000, v146
	v_lshl_add_u32 v144, v144, 23, 0x3b800000
	s_delay_alu instid0(VALU_DEP_2) | instskip(NEXT) | instid1(VALU_DEP_1)
	v_lshlrev_b32_e32 v134, 20, v134
	v_or3_b32 v134, v135, v144, v134
.LBB2_848:                              ;   in Loop: Header=BB2_634 Depth=2
	s_or_b32 exec_lo, exec_lo, s8
	v_or_b32_e32 v18, v87, v18
	s_mov_b32 s7, 0
	s_mov_b32 s18, exec_lo
                                        ; implicit-def: $sgpr8
	s_delay_alu instid0(VALU_DEP_1) | instskip(NEXT) | instid1(VALU_DEP_1)
	v_and_b32_e32 v87, 0xff, v18
	v_cmpx_lt_i16_e32 0x7f, v87
	s_xor_b32 s18, exec_lo, s18
	s_cbranch_execnz .LBB2_978
; %bb.849:                              ;   in Loop: Header=BB2_634 Depth=2
	s_or_saveexec_b32 s18, s18
	v_mov_b32_e32 v135, s8
	s_xor_b32 exec_lo, exec_lo, s18
	s_cbranch_execnz .LBB2_981
.LBB2_850:                              ;   in Loop: Header=BB2_634 Depth=2
	s_or_b32 exec_lo, exec_lo, s18
	v_lshl_or_b32 v87, v18, 16, v133
	s_and_saveexec_b32 s8, s7
	s_cbranch_execz .LBB2_852
.LBB2_851:                              ;   in Loop: Header=BB2_634 Depth=2
	s_delay_alu instid0(VALU_DEP_1) | instskip(SKIP_2) | instid1(VALU_DEP_3)
	v_bfe_u32 v18, v87, 16, 3
	v_lshrrev_b32_e32 v135, 16, v87
	v_lshlrev_b32_e32 v145, 8, v87
	v_clz_i32_u32_e32 v133, v18
	s_delay_alu instid0(VALU_DEP_1) | instskip(NEXT) | instid1(VALU_DEP_1)
	v_min_u32_e32 v133, 32, v133
	v_subrev_nc_u32_e32 v144, 28, v133
	v_sub_nc_u32_e32 v133, 29, v133
	s_delay_alu instid0(VALU_DEP_2) | instskip(SKIP_1) | instid1(VALU_DEP_2)
	v_lshlrev_b32_e32 v135, v144, v135
	v_bfe_u32 v144, v87, 19, 4
	v_and_b32_e32 v135, 7, v135
	s_delay_alu instid0(VALU_DEP_2) | instskip(NEXT) | instid1(VALU_DEP_2)
	v_cmp_eq_u32_e32 vcc_lo, 0, v144
	v_dual_cndmask_b32 v133, v144, v133 :: v_dual_cndmask_b32 v18, v18, v135
	v_and_b32_e32 v135, 0x80000000, v145
	s_delay_alu instid0(VALU_DEP_2) | instskip(NEXT) | instid1(VALU_DEP_3)
	v_lshl_add_u32 v133, v133, 23, 0x3b800000
	v_lshlrev_b32_e32 v18, 20, v18
	s_delay_alu instid0(VALU_DEP_1)
	v_or3_b32 v135, v135, v133, v18
.LBB2_852:                              ;   in Loop: Header=BB2_634 Depth=2
	s_or_b32 exec_lo, exec_lo, s8
	s_delay_alu instid0(VALU_DEP_1) | instskip(NEXT) | instid1(VALU_DEP_1)
	v_add_f32_e32 v133, v134, v135
	v_and_b32_e32 v18, 0x7f800000, v133
	s_delay_alu instid0(VALU_DEP_1)
	v_cmp_ne_u32_e32 vcc_lo, 0x7f800000, v18
	v_mov_b32_e32 v18, 0x80
	s_and_saveexec_b32 s8, vcc_lo
	s_cbranch_execz .LBB2_860
; %bb.853:                              ;   in Loop: Header=BB2_634 Depth=2
	v_mov_b32_e32 v18, 0
	s_mov_b32 s18, exec_lo
	v_cmpx_ne_u32_e32 0, v133
	s_cbranch_execz .LBB2_859
; %bb.854:                              ;   in Loop: Header=BB2_634 Depth=2
	v_bfe_u32 v18, v133, 23, 8
	s_delay_alu instid0(VALU_DEP_1) | instskip(SKIP_1) | instid1(VALU_DEP_2)
	v_sub_nc_u32_e32 v135, 0x78, v18
	v_cmp_gt_u32_e32 vcc_lo, 0x79, v18
	v_dual_cndmask_b32 v135, 0, v135 :: v_dual_and_b32 v134, 0x7fffff, v133
	s_delay_alu instid0(VALU_DEP_1) | instskip(SKIP_2) | instid1(VALU_DEP_4)
	v_or_b32_e32 v144, 0x800000, v134
	v_cmp_eq_u32_e32 vcc_lo, 0, v18
	v_add_nc_u32_e32 v18, 0xffffff89, v18
	v_cndmask_b32_e64 v135, v135, 0x77, vcc_lo
	s_delay_alu instid0(VALU_DEP_4) | instskip(NEXT) | instid1(VALU_DEP_3)
	v_cndmask_b32_e32 v134, v144, v134, vcc_lo
	v_cndmask_b32_e64 v18, v18, 0xffffff8a, vcc_lo
	s_delay_alu instid0(VALU_DEP_3) | instskip(NEXT) | instid1(VALU_DEP_3)
	v_lshl_add_u32 v144, 0x100000, v135, -1
	v_lshrrev_b32_e32 v145, v135, v134
	v_lshlrev_b32_e64 v147, v135, 0x80000
	s_delay_alu instid0(VALU_DEP_4) | instskip(NEXT) | instid1(VALU_DEP_4)
	v_add_nc_u32_e32 v135, v135, v18
	v_and_b32_e32 v134, v144, v134
	s_delay_alu instid0(VALU_DEP_4) | instskip(NEXT) | instid1(VALU_DEP_2)
	v_bfe_u32 v146, v145, 20, 1
	v_cmp_eq_u32_e64 s7, v134, v147
	s_delay_alu instid0(VALU_DEP_2) | instskip(NEXT) | instid1(VALU_DEP_1)
	v_add_nc_u32_e32 v144, -1, v146
	v_cndmask_b32_e64 v134, 0, v144, s7
	v_lshrrev_b32_e32 v144, 23, v145
	s_mov_b32 s7, exec_lo
	s_delay_alu instid0(VALU_DEP_2) | instskip(NEXT) | instid1(VALU_DEP_2)
	v_add_nc_u32_e32 v134, v134, v145
	v_xor_b32_e32 v144, 1, v144
	s_delay_alu instid0(VALU_DEP_2) | instskip(NEXT) | instid1(VALU_DEP_1)
	v_and_b32_e32 v18, 0xfffff, v134
	v_add_nc_u32_e32 v134, v18, v145
                                        ; implicit-def: $vgpr18
	s_delay_alu instid0(VALU_DEP_3)
	v_cmpx_ne_u32_e64 v135, v144
	s_xor_b32 s7, exec_lo, s7
; %bb.855:                              ;   in Loop: Header=BB2_634 Depth=2
	s_delay_alu instid0(VALU_DEP_2) | instskip(SKIP_2) | instid1(VALU_DEP_2)
	v_cmp_lt_u32_e32 vcc_lo, 0xffffff, v134
	v_sub_nc_u32_e32 v18, v135, v144
	v_cndmask_b32_e64 v135, 0, 1, vcc_lo
	v_add_co_ci_u32_e32 v18, vcc_lo, 0, v18, vcc_lo
	s_delay_alu instid0(VALU_DEP_2)
	v_lshrrev_b32_e32 v134, v135, v134
; %bb.856:                              ;   in Loop: Header=BB2_634 Depth=2
	s_and_not1_saveexec_b32 s7, s7
; %bb.857:                              ;   in Loop: Header=BB2_634 Depth=2
	s_delay_alu instid0(VALU_DEP_1)
	v_bfe_u32 v18, v134, 23, 1
; %bb.858:                              ;   in Loop: Header=BB2_634 Depth=2
	s_or_b32 exec_lo, exec_lo, s7
	v_lshrrev_b32_e32 v134, 20, v134
	s_delay_alu instid0(VALU_DEP_2) | instskip(SKIP_2) | instid1(VALU_DEP_2)
	v_cmp_gt_i32_e32 vcc_lo, 16, v18
	v_min_i32_e32 v135, 15, v18
	v_lshrrev_b32_e32 v133, 24, v133
	v_dual_cndmask_b32 v134, 7, v134 :: v_dual_lshlrev_b32 v135, 3, v135
	s_delay_alu instid0(VALU_DEP_2) | instskip(NEXT) | instid1(VALU_DEP_2)
	v_and_b32_e32 v133, 0x80, v133
	v_or_b32_e32 v18, v18, v134
	v_and_b32_e32 v144, 7, v134
	s_delay_alu instid0(VALU_DEP_2) | instskip(SKIP_1) | instid1(VALU_DEP_1)
	v_cmp_ne_u32_e32 vcc_lo, 0, v18
	v_and_b32_e32 v135, 0xf8, v135
	v_or3_b32 v133, v135, v133, v144
	s_delay_alu instid0(VALU_DEP_1)
	v_cndmask_b32_e32 v18, 0, v133, vcc_lo
.LBB2_859:                              ;   in Loop: Header=BB2_634 Depth=2
	s_or_b32 exec_lo, exec_lo, s18
.LBB2_860:                              ;   in Loop: Header=BB2_634 Depth=2
	s_delay_alu instid0(SALU_CYCLE_1) | instskip(SKIP_3) | instid1(VALU_DEP_1)
	s_or_b32 exec_lo, exec_lo, s8
	v_lshrrev_b32_e32 v134, 24, v19
	s_mov_b32 s7, 0
	s_mov_b32 s18, exec_lo
                                        ; implicit-def: $sgpr8
	v_cmpx_lt_i16_e64 0x7f, v134
	s_xor_b32 s18, exec_lo, s18
	s_cbranch_execnz .LBB2_982
; %bb.861:                              ;   in Loop: Header=BB2_634 Depth=2
	s_or_saveexec_b32 s18, s18
	v_mov_b32_e32 v133, s8
	s_xor_b32 exec_lo, exec_lo, s18
	s_cbranch_execnz .LBB2_985
.LBB2_862:                              ;   in Loop: Header=BB2_634 Depth=2
	s_or_b32 exec_lo, exec_lo, s18
	s_and_saveexec_b32 s8, s7
	s_cbranch_execz .LBB2_864
.LBB2_863:                              ;   in Loop: Header=BB2_634 Depth=2
	v_bfe_u32 v133, v19, 24, 3
	s_delay_alu instid0(VALU_DEP_1) | instskip(NEXT) | instid1(VALU_DEP_1)
	v_clz_i32_u32_e32 v135, v133
	v_min_u32_e32 v135, 32, v135
	s_delay_alu instid0(VALU_DEP_1) | instskip(SKIP_1) | instid1(VALU_DEP_2)
	v_subrev_nc_u32_e32 v144, 28, v135
	v_sub_nc_u32_e32 v135, 29, v135
	v_lshlrev_b32_e32 v134, v144, v134
	v_bfe_u32 v144, v19, 27, 4
	v_and_b32_e32 v19, 0x80000000, v19
	s_delay_alu instid0(VALU_DEP_2) | instskip(NEXT) | instid1(VALU_DEP_4)
	v_cmp_eq_u32_e32 vcc_lo, 0, v144
	v_dual_cndmask_b32 v135, v144, v135 :: v_dual_and_b32 v134, 7, v134
	s_delay_alu instid0(VALU_DEP_1) | instskip(NEXT) | instid1(VALU_DEP_2)
	v_cndmask_b32_e32 v133, v133, v134, vcc_lo
	v_lshl_add_u32 v134, v135, 23, 0x3b800000
	s_delay_alu instid0(VALU_DEP_2) | instskip(NEXT) | instid1(VALU_DEP_1)
	v_lshlrev_b32_e32 v133, 20, v133
	v_or3_b32 v133, v19, v134, v133
.LBB2_864:                              ;   in Loop: Header=BB2_634 Depth=2
	s_or_b32 exec_lo, exec_lo, s8
	v_lshrrev_b32_e32 v19, 24, v87
	s_mov_b32 s7, 0
	s_mov_b32 s18, exec_lo
                                        ; implicit-def: $sgpr8
	s_delay_alu instid0(VALU_DEP_1)
	v_cmpx_lt_i16_e32 0x7f, v19
	s_xor_b32 s18, exec_lo, s18
	s_cbranch_execnz .LBB2_986
; %bb.865:                              ;   in Loop: Header=BB2_634 Depth=2
	s_or_saveexec_b32 s18, s18
	v_mov_b32_e32 v134, s8
	s_xor_b32 exec_lo, exec_lo, s18
	s_cbranch_execnz .LBB2_989
.LBB2_866:                              ;   in Loop: Header=BB2_634 Depth=2
	s_or_b32 exec_lo, exec_lo, s18
	s_and_saveexec_b32 s8, s7
	s_cbranch_execz .LBB2_868
.LBB2_867:                              ;   in Loop: Header=BB2_634 Depth=2
	v_bfe_u32 v134, v87, 24, 3
	s_delay_alu instid0(VALU_DEP_1) | instskip(NEXT) | instid1(VALU_DEP_1)
	v_clz_i32_u32_e32 v135, v134
	v_min_u32_e32 v135, 32, v135
	s_delay_alu instid0(VALU_DEP_1) | instskip(SKIP_1) | instid1(VALU_DEP_2)
	v_subrev_nc_u32_e32 v144, 28, v135
	v_sub_nc_u32_e32 v135, 29, v135
	v_lshlrev_b32_e32 v19, v144, v19
	v_bfe_u32 v144, v87, 27, 4
	v_and_b32_e32 v87, 0x80000000, v87
	s_delay_alu instid0(VALU_DEP_3) | instskip(NEXT) | instid1(VALU_DEP_3)
	v_and_b32_e32 v19, 7, v19
	v_cmp_eq_u32_e32 vcc_lo, 0, v144
	v_cndmask_b32_e32 v135, v144, v135, vcc_lo
	s_delay_alu instid0(VALU_DEP_3) | instskip(NEXT) | instid1(VALU_DEP_2)
	v_cndmask_b32_e32 v19, v134, v19, vcc_lo
	v_lshl_add_u32 v134, v135, 23, 0x3b800000
	s_delay_alu instid0(VALU_DEP_2) | instskip(NEXT) | instid1(VALU_DEP_1)
	v_lshlrev_b32_e32 v19, 20, v19
	v_or3_b32 v134, v87, v134, v19
.LBB2_868:                              ;   in Loop: Header=BB2_634 Depth=2
	s_or_b32 exec_lo, exec_lo, s8
	s_delay_alu instid0(VALU_DEP_1) | instskip(NEXT) | instid1(VALU_DEP_1)
	v_add_f32_e32 v19, v133, v134
	v_and_b32_e32 v87, 0x7f800000, v19
	s_delay_alu instid0(VALU_DEP_1)
	v_cmp_ne_u32_e32 vcc_lo, 0x7f800000, v87
	v_mov_b32_e32 v87, 0x8000
	s_and_saveexec_b32 s8, vcc_lo
	s_cbranch_execz .LBB2_876
; %bb.869:                              ;   in Loop: Header=BB2_634 Depth=2
	v_mov_b32_e32 v87, 0
	s_mov_b32 s18, exec_lo
	v_cmpx_ne_u32_e32 0, v19
	s_cbranch_execz .LBB2_875
; %bb.870:                              ;   in Loop: Header=BB2_634 Depth=2
	v_bfe_u32 v87, v19, 23, 8
	s_delay_alu instid0(VALU_DEP_1) | instskip(SKIP_1) | instid1(VALU_DEP_2)
	v_sub_nc_u32_e32 v134, 0x78, v87
	v_cmp_gt_u32_e32 vcc_lo, 0x79, v87
	v_dual_cndmask_b32 v134, 0, v134 :: v_dual_and_b32 v133, 0x7fffff, v19
	s_delay_alu instid0(VALU_DEP_1) | instskip(SKIP_2) | instid1(VALU_DEP_4)
	v_or_b32_e32 v135, 0x800000, v133
	v_cmp_eq_u32_e32 vcc_lo, 0, v87
	v_add_nc_u32_e32 v87, 0xffffff89, v87
	v_cndmask_b32_e64 v134, v134, 0x77, vcc_lo
	s_delay_alu instid0(VALU_DEP_2) | instskip(SKIP_1) | instid1(VALU_DEP_3)
	v_cndmask_b32_e64 v87, v87, 0xffffff8a, vcc_lo
	v_cndmask_b32_e32 v133, v135, v133, vcc_lo
	v_lshl_add_u32 v135, 0x100000, v134, -1
	v_lshlrev_b32_e64 v146, v134, 0x80000
	s_delay_alu instid0(VALU_DEP_3) | instskip(SKIP_1) | instid1(VALU_DEP_4)
	v_lshrrev_b32_e32 v144, v134, v133
	v_add_nc_u32_e32 v134, v134, v87
	v_and_b32_e32 v133, v135, v133
	s_delay_alu instid0(VALU_DEP_3) | instskip(NEXT) | instid1(VALU_DEP_2)
	v_bfe_u32 v145, v144, 20, 1
	v_cmp_eq_u32_e64 s7, v133, v146
	s_delay_alu instid0(VALU_DEP_2) | instskip(NEXT) | instid1(VALU_DEP_1)
	v_add_nc_u32_e32 v135, -1, v145
	v_cndmask_b32_e64 v133, 0, v135, s7
	v_lshrrev_b32_e32 v135, 23, v144
	s_mov_b32 s7, exec_lo
	s_delay_alu instid0(VALU_DEP_2) | instskip(NEXT) | instid1(VALU_DEP_2)
	v_add_nc_u32_e32 v133, v133, v144
	v_xor_b32_e32 v135, 1, v135
	s_delay_alu instid0(VALU_DEP_2) | instskip(NEXT) | instid1(VALU_DEP_1)
	v_and_b32_e32 v87, 0xfffff, v133
	v_add_nc_u32_e32 v133, v87, v144
                                        ; implicit-def: $vgpr87
	s_delay_alu instid0(VALU_DEP_3)
	v_cmpx_ne_u32_e64 v134, v135
	s_xor_b32 s7, exec_lo, s7
; %bb.871:                              ;   in Loop: Header=BB2_634 Depth=2
	s_delay_alu instid0(VALU_DEP_2) | instskip(SKIP_2) | instid1(VALU_DEP_2)
	v_cmp_lt_u32_e32 vcc_lo, 0xffffff, v133
	v_sub_nc_u32_e32 v87, v134, v135
	v_cndmask_b32_e64 v134, 0, 1, vcc_lo
	v_add_co_ci_u32_e32 v87, vcc_lo, 0, v87, vcc_lo
	s_delay_alu instid0(VALU_DEP_2)
	v_lshrrev_b32_e32 v133, v134, v133
; %bb.872:                              ;   in Loop: Header=BB2_634 Depth=2
	s_and_not1_saveexec_b32 s7, s7
; %bb.873:                              ;   in Loop: Header=BB2_634 Depth=2
	s_delay_alu instid0(VALU_DEP_1)
	v_bfe_u32 v87, v133, 23, 1
; %bb.874:                              ;   in Loop: Header=BB2_634 Depth=2
	s_or_b32 exec_lo, exec_lo, s7
	v_lshrrev_b32_e32 v133, 20, v133
	s_delay_alu instid0(VALU_DEP_2) | instskip(SKIP_2) | instid1(VALU_DEP_2)
	v_cmp_gt_i32_e32 vcc_lo, 16, v87
	v_min_i32_e32 v134, 15, v87
	v_lshrrev_b32_e32 v19, 24, v19
	v_dual_cndmask_b32 v133, 7, v133 :: v_dual_lshlrev_b32 v134, 3, v134
	s_delay_alu instid0(VALU_DEP_2) | instskip(NEXT) | instid1(VALU_DEP_2)
	v_and_b32_e32 v19, 0x80, v19
	v_or_b32_e32 v87, v87, v133
	v_and_b32_e32 v135, 7, v133
	s_delay_alu instid0(VALU_DEP_2) | instskip(SKIP_1) | instid1(VALU_DEP_1)
	v_cmp_ne_u32_e32 vcc_lo, 0, v87
	v_and_b32_e32 v134, 0xf8, v134
	v_or3_b32 v19, v19, v134, v135
	s_delay_alu instid0(VALU_DEP_1) | instskip(NEXT) | instid1(VALU_DEP_1)
	v_lshlrev_b32_e32 v19, 8, v19
	v_cndmask_b32_e32 v87, 0, v19, vcc_lo
.LBB2_875:                              ;   in Loop: Header=BB2_634 Depth=2
	s_or_b32 exec_lo, exec_lo, s18
.LBB2_876:                              ;   in Loop: Header=BB2_634 Depth=2
	s_delay_alu instid0(SALU_CYCLE_1)
	s_or_b32 exec_lo, exec_lo, s8
	v_cmp_lt_u32_e32 vcc_lo, 7, v132
	v_and_or_b32 v19, 0xff, v81, v96
	v_or_b32_e32 v18, v87, v18
	v_cndmask_b32_e64 v133, 0, 1, vcc_lo
	;;#ASMSTART
	;;#ASMEND
	s_delay_alu instid0(VALU_DEP_1) | instskip(NEXT) | instid1(VALU_DEP_3)
	v_cmp_ne_u32_e64 s7, 0, v133
	v_lshl_or_b32 v18, v18, 16, v19
	s_delay_alu instid0(VALU_DEP_2)
	s_cmp_lg_u32 s7, exec_lo
	s_mov_b32 s7, -1
	s_cbranch_scc0 .LBB2_892
; %bb.877:                              ;   in Loop: Header=BB2_634 Depth=2
	s_mov_b32 s8, exec_lo
	flat_store_b8 v[70:71], v20
	v_cmpx_ne_u32_e32 1, v132
	s_cbranch_execz .LBB2_879
; %bb.878:                              ;   in Loop: Header=BB2_634 Depth=2
	flat_store_b8 v[70:71], v82 offset:1
.LBB2_879:                              ;   in Loop: Header=BB2_634 Depth=2
	s_or_b32 exec_lo, exec_lo, s8
	s_delay_alu instid0(SALU_CYCLE_1)
	s_mov_b32 s8, exec_lo
	v_cmpx_lt_u32_e32 2, v132
	s_cbranch_execz .LBB2_881
; %bb.880:                              ;   in Loop: Header=BB2_634 Depth=2
	flat_store_b8 v[70:71], v97 offset:2
.LBB2_881:                              ;   in Loop: Header=BB2_634 Depth=2
	s_or_b32 exec_lo, exec_lo, s8
	s_delay_alu instid0(SALU_CYCLE_1)
	s_mov_b32 s8, exec_lo
	v_cmpx_lt_u32_e32 3, v132
	;; [unrolled: 8-line block ×4, first 2 shown]
	s_cbranch_execz .LBB2_887
; %bb.886:                              ;   in Loop: Header=BB2_634 Depth=2
	v_lshrrev_b32_e32 v19, 8, v96
	flat_store_b8 v[70:71], v19 offset:5
.LBB2_887:                              ;   in Loop: Header=BB2_634 Depth=2
	s_or_b32 exec_lo, exec_lo, s8
	s_delay_alu instid0(SALU_CYCLE_1)
	s_mov_b32 s8, exec_lo
	v_cmpx_lt_u32_e32 6, v132
	s_cbranch_execz .LBB2_889
; %bb.888:                              ;   in Loop: Header=BB2_634 Depth=2
	flat_store_d16_hi_b8 v[70:71], v18 offset:6
.LBB2_889:                              ;   in Loop: Header=BB2_634 Depth=2
	s_or_b32 exec_lo, exec_lo, s8
	s_and_saveexec_b32 s7, vcc_lo
	s_cbranch_execz .LBB2_891
; %bb.890:                              ;   in Loop: Header=BB2_634 Depth=2
	v_lshrrev_b32_e32 v19, 24, v18
	flat_store_b8 v[70:71], v19 offset:7
.LBB2_891:                              ;   in Loop: Header=BB2_634 Depth=2
	s_or_b32 exec_lo, exec_lo, s7
	s_mov_b32 s7, 0
.LBB2_892:                              ;   in Loop: Header=BB2_634 Depth=2
	s_delay_alu instid0(SALU_CYCLE_1)
	s_and_b32 vcc_lo, exec_lo, s7
	s_cbranch_vccz .LBB2_633
; %bb.893:                              ;   in Loop: Header=BB2_634 Depth=2
	v_perm_b32 v17, v17, v97, 0x6050400
	v_lshlrev_b32_e32 v19, 8, v82
	s_delay_alu instid0(VALU_DEP_2) | instskip(NEXT) | instid1(VALU_DEP_1)
	v_perm_b32 v17, v17, v20, 0x5040c00
	v_and_or_b32 v17, 0xff00, v19, v17
	global_store_b64 v[70:71], v[17:18], off
	s_branch .LBB2_633
.LBB2_894:                              ;   in Loop: Header=BB2_634 Depth=2
	s_mov_b32 s7, -1
	s_mov_b32 s19, exec_lo
                                        ; implicit-def: $sgpr8
	v_cmpx_eq_u16_e32 0x80, v82
; %bb.895:                              ;   in Loop: Header=BB2_634 Depth=2
	s_mov_b32 s8, 0x7f800001
	s_xor_b32 s7, exec_lo, -1
; %bb.896:                              ;   in Loop: Header=BB2_634 Depth=2
	s_or_b32 exec_lo, exec_lo, s19
	s_delay_alu instid0(SALU_CYCLE_1)
	s_and_b32 s7, s7, exec_lo
                                        ; implicit-def: $vgpr82
	s_or_saveexec_b32 s18, s18
	v_mov_b32_e32 v20, s8
	s_xor_b32 exec_lo, exec_lo, s18
	s_cbranch_execz .LBB2_654
.LBB2_897:                              ;   in Loop: Header=BB2_634 Depth=2
	v_cmp_ne_u16_e32 vcc_lo, 0, v82
	v_mov_b32_e32 v20, 0
	s_and_not1_b32 s7, s7, exec_lo
	s_and_b32 s8, vcc_lo, exec_lo
	s_delay_alu instid0(SALU_CYCLE_1)
	s_or_b32 s7, s7, s8
	s_or_b32 exec_lo, exec_lo, s18
	s_and_saveexec_b32 s8, s7
	s_cbranch_execnz .LBB2_655
	s_branch .LBB2_656
.LBB2_898:                              ;   in Loop: Header=BB2_634 Depth=2
	s_mov_b32 s7, -1
	s_mov_b32 s19, exec_lo
                                        ; implicit-def: $sgpr8
	v_cmpx_eq_u16_e32 0x80, v82
; %bb.899:                              ;   in Loop: Header=BB2_634 Depth=2
	s_mov_b32 s8, 0x7f800001
	s_xor_b32 s7, exec_lo, -1
; %bb.900:                              ;   in Loop: Header=BB2_634 Depth=2
	s_or_b32 exec_lo, exec_lo, s19
	s_delay_alu instid0(SALU_CYCLE_1)
	s_and_b32 s7, s7, exec_lo
	s_or_saveexec_b32 s18, s18
	v_mov_b32_e32 v96, s8
	s_xor_b32 exec_lo, exec_lo, s18
	s_cbranch_execz .LBB2_666
.LBB2_901:                              ;   in Loop: Header=BB2_634 Depth=2
	v_cmp_ne_u16_e32 vcc_lo, 0, v82
	v_mov_b32_e32 v96, 0
	s_and_not1_b32 s7, s7, exec_lo
	s_and_b32 s8, vcc_lo, exec_lo
	s_delay_alu instid0(SALU_CYCLE_1)
	s_or_b32 s7, s7, s8
	s_or_b32 exec_lo, exec_lo, s18
	s_and_saveexec_b32 s8, s7
	s_cbranch_execnz .LBB2_667
	s_branch .LBB2_668
.LBB2_902:                              ;   in Loop: Header=BB2_634 Depth=2
	s_mov_b32 s7, -1
	s_mov_b32 s19, exec_lo
                                        ; implicit-def: $sgpr8
	v_cmpx_eq_u16_e64 0x80, v134
; %bb.903:                              ;   in Loop: Header=BB2_634 Depth=2
	s_mov_b32 s8, 0x7f800001
	s_xor_b32 s7, exec_lo, -1
; %bb.904:                              ;   in Loop: Header=BB2_634 Depth=2
	s_or_b32 exec_lo, exec_lo, s19
	s_delay_alu instid0(SALU_CYCLE_1)
	s_and_b32 s7, s7, exec_lo
                                        ; implicit-def: $vgpr134
	s_or_saveexec_b32 s18, s18
	v_mov_b32_e32 v97, s8
	s_xor_b32 exec_lo, exec_lo, s18
	s_cbranch_execz .LBB2_678
.LBB2_905:                              ;   in Loop: Header=BB2_634 Depth=2
	v_cmp_ne_u16_e64 vcc_lo, 0, v134
	v_mov_b32_e32 v97, 0
	s_and_not1_b32 s7, s7, exec_lo
	s_delay_alu instid0(VALU_DEP_2) | instskip(NEXT) | instid1(SALU_CYCLE_1)
	s_and_b32 s8, vcc_lo, exec_lo
	s_or_b32 s7, s7, s8
	s_or_b32 exec_lo, exec_lo, s18
	s_and_saveexec_b32 s8, s7
	s_cbranch_execnz .LBB2_679
	s_branch .LBB2_680
.LBB2_906:                              ;   in Loop: Header=BB2_634 Depth=2
	s_mov_b32 s7, -1
	s_mov_b32 s19, exec_lo
                                        ; implicit-def: $sgpr8
	v_cmpx_eq_u16_e32 0x80, v96
; %bb.907:                              ;   in Loop: Header=BB2_634 Depth=2
	s_mov_b32 s8, 0x7f800001
	s_xor_b32 s7, exec_lo, -1
; %bb.908:                              ;   in Loop: Header=BB2_634 Depth=2
	s_or_b32 exec_lo, exec_lo, s19
	s_delay_alu instid0(SALU_CYCLE_1)
	s_and_b32 s7, s7, exec_lo
	s_or_saveexec_b32 s18, s18
	v_mov_b32_e32 v134, s8
	s_xor_b32 exec_lo, exec_lo, s18
	s_cbranch_execz .LBB2_690
.LBB2_909:                              ;   in Loop: Header=BB2_634 Depth=2
	v_cmp_ne_u16_e32 vcc_lo, 0, v96
	v_mov_b32_e32 v134, 0
	s_and_not1_b32 s7, s7, exec_lo
	s_and_b32 s8, vcc_lo, exec_lo
	s_delay_alu instid0(SALU_CYCLE_1)
	s_or_b32 s7, s7, s8
	s_or_b32 exec_lo, exec_lo, s18
	s_and_saveexec_b32 s8, s7
	s_cbranch_execnz .LBB2_691
	s_branch .LBB2_692
.LBB2_910:                              ;   in Loop: Header=BB2_634 Depth=2
	s_mov_b32 s7, -1
	s_mov_b32 s19, exec_lo
                                        ; implicit-def: $sgpr8
	v_cmpx_eq_u16_e32 0x80, v81
; %bb.911:                              ;   in Loop: Header=BB2_634 Depth=2
	s_mov_b32 s8, 0x7f800001
	s_xor_b32 s7, exec_lo, -1
; %bb.912:                              ;   in Loop: Header=BB2_634 Depth=2
	s_or_b32 exec_lo, exec_lo, s19
	s_delay_alu instid0(SALU_CYCLE_1)
	s_and_b32 s7, s7, exec_lo
                                        ; implicit-def: $vgpr81
	s_or_saveexec_b32 s18, s18
	v_mov_b32_e32 v18, s8
	s_xor_b32 exec_lo, exec_lo, s18
	s_cbranch_execz .LBB2_702
.LBB2_913:                              ;   in Loop: Header=BB2_634 Depth=2
	v_cmp_ne_u16_e32 vcc_lo, 0, v81
	v_mov_b32_e32 v18, 0
	s_and_not1_b32 s7, s7, exec_lo
	s_and_b32 s8, vcc_lo, exec_lo
	s_delay_alu instid0(SALU_CYCLE_1)
	s_or_b32 s7, s7, s8
	s_or_b32 exec_lo, exec_lo, s18
	s_and_saveexec_b32 s8, s7
	s_cbranch_execnz .LBB2_703
	s_branch .LBB2_704
.LBB2_914:                              ;   in Loop: Header=BB2_634 Depth=2
	s_mov_b32 s7, -1
	s_mov_b32 s19, exec_lo
                                        ; implicit-def: $sgpr8
	v_cmpx_eq_u16_e32 0x80, v18
; %bb.915:                              ;   in Loop: Header=BB2_634 Depth=2
	s_mov_b32 s8, 0x7f800001
	s_xor_b32 s7, exec_lo, -1
; %bb.916:                              ;   in Loop: Header=BB2_634 Depth=2
	s_or_b32 exec_lo, exec_lo, s19
	s_delay_alu instid0(SALU_CYCLE_1)
	s_and_b32 s7, s7, exec_lo
	s_or_saveexec_b32 s18, s18
	v_mov_b32_e32 v133, s8
	s_xor_b32 exec_lo, exec_lo, s18
	s_cbranch_execz .LBB2_714
.LBB2_917:                              ;   in Loop: Header=BB2_634 Depth=2
	v_cmp_ne_u16_e32 vcc_lo, 0, v18
	v_mov_b32_e32 v133, 0
	s_and_not1_b32 s7, s7, exec_lo
	s_and_b32 s8, vcc_lo, exec_lo
	s_delay_alu instid0(SALU_CYCLE_1)
	s_or_b32 s7, s7, s8
	s_or_b32 exec_lo, exec_lo, s18
	s_and_saveexec_b32 s8, s7
	s_cbranch_execnz .LBB2_715
	s_branch .LBB2_716
.LBB2_918:                              ;   in Loop: Header=BB2_634 Depth=2
	s_mov_b32 s7, -1
	s_mov_b32 s19, exec_lo
                                        ; implicit-def: $sgpr8
	v_cmpx_eq_u16_e64 0x80, v135
; %bb.919:                              ;   in Loop: Header=BB2_634 Depth=2
	s_mov_b32 s8, 0x7f800001
	s_xor_b32 s7, exec_lo, -1
; %bb.920:                              ;   in Loop: Header=BB2_634 Depth=2
	s_or_b32 exec_lo, exec_lo, s19
	s_delay_alu instid0(SALU_CYCLE_1)
	s_and_b32 s7, s7, exec_lo
                                        ; implicit-def: $vgpr135
	s_or_saveexec_b32 s18, s18
	v_mov_b32_e32 v134, s8
	s_xor_b32 exec_lo, exec_lo, s18
	s_cbranch_execz .LBB2_726
.LBB2_921:                              ;   in Loop: Header=BB2_634 Depth=2
	v_cmp_ne_u16_e64 vcc_lo, 0, v135
	v_mov_b32_e32 v134, 0
	s_and_not1_b32 s7, s7, exec_lo
	s_delay_alu instid0(VALU_DEP_2) | instskip(NEXT) | instid1(SALU_CYCLE_1)
	s_and_b32 s8, vcc_lo, exec_lo
	s_or_b32 s7, s7, s8
	s_or_b32 exec_lo, exec_lo, s18
	s_and_saveexec_b32 s8, s7
	s_cbranch_execnz .LBB2_727
	s_branch .LBB2_728
.LBB2_922:                              ;   in Loop: Header=BB2_634 Depth=2
	s_mov_b32 s7, -1
	s_mov_b32 s19, exec_lo
                                        ; implicit-def: $sgpr8
	v_cmpx_eq_u16_e64 0x80, v134
; %bb.923:                              ;   in Loop: Header=BB2_634 Depth=2
	s_mov_b32 s8, 0x7f800001
	s_xor_b32 s7, exec_lo, -1
; %bb.924:                              ;   in Loop: Header=BB2_634 Depth=2
	s_or_b32 exec_lo, exec_lo, s19
	s_delay_alu instid0(SALU_CYCLE_1)
	s_and_b32 s7, s7, exec_lo
	s_or_saveexec_b32 s18, s18
	v_mov_b32_e32 v135, s8
	s_xor_b32 exec_lo, exec_lo, s18
	s_cbranch_execz .LBB2_738
.LBB2_925:                              ;   in Loop: Header=BB2_634 Depth=2
	v_cmp_ne_u16_e64 vcc_lo, 0, v134
	v_mov_b32_e32 v135, 0
	s_and_not1_b32 s7, s7, exec_lo
	s_delay_alu instid0(VALU_DEP_2) | instskip(NEXT) | instid1(SALU_CYCLE_1)
	s_and_b32 s8, vcc_lo, exec_lo
	s_or_b32 s7, s7, s8
	s_or_b32 exec_lo, exec_lo, s18
	s_and_saveexec_b32 s8, s7
	s_cbranch_execnz .LBB2_739
	s_branch .LBB2_740
.LBB2_926:                              ;   in Loop: Header=BB2_634 Depth=2
	s_mov_b32 s7, -1
	s_mov_b32 s19, exec_lo
                                        ; implicit-def: $sgpr8
	v_cmpx_eq_u16_e64 0x80, v135
; %bb.927:                              ;   in Loop: Header=BB2_634 Depth=2
	s_mov_b32 s8, 0x7f800001
	s_xor_b32 s7, exec_lo, -1
; %bb.928:                              ;   in Loop: Header=BB2_634 Depth=2
	s_or_b32 exec_lo, exec_lo, s19
	s_delay_alu instid0(SALU_CYCLE_1)
	s_and_b32 s7, s7, exec_lo
                                        ; implicit-def: $vgpr135
	s_or_saveexec_b32 s18, s18
	v_mov_b32_e32 v134, s8
	s_xor_b32 exec_lo, exec_lo, s18
	s_cbranch_execz .LBB2_750
.LBB2_929:                              ;   in Loop: Header=BB2_634 Depth=2
	v_cmp_ne_u16_e64 vcc_lo, 0, v135
	v_mov_b32_e32 v134, 0
	s_and_not1_b32 s7, s7, exec_lo
	s_delay_alu instid0(VALU_DEP_2) | instskip(NEXT) | instid1(SALU_CYCLE_1)
	s_and_b32 s8, vcc_lo, exec_lo
	s_or_b32 s7, s7, s8
	s_or_b32 exec_lo, exec_lo, s18
	s_and_saveexec_b32 s8, s7
	s_cbranch_execnz .LBB2_751
	s_branch .LBB2_752
.LBB2_930:                              ;   in Loop: Header=BB2_634 Depth=2
	s_mov_b32 s7, -1
	s_mov_b32 s19, exec_lo
                                        ; implicit-def: $sgpr8
	v_cmpx_eq_u16_e64 0x80, v144
; %bb.931:                              ;   in Loop: Header=BB2_634 Depth=2
	s_mov_b32 s8, 0x7f800001
	s_xor_b32 s7, exec_lo, -1
; %bb.932:                              ;   in Loop: Header=BB2_634 Depth=2
	s_or_b32 exec_lo, exec_lo, s19
	s_delay_alu instid0(SALU_CYCLE_1)
	s_and_b32 s7, s7, exec_lo
                                        ; implicit-def: $vgpr144
	s_or_saveexec_b32 s18, s18
	v_mov_b32_e32 v135, s8
	s_xor_b32 exec_lo, exec_lo, s18
	s_cbranch_execz .LBB2_754
.LBB2_933:                              ;   in Loop: Header=BB2_634 Depth=2
	v_cmp_ne_u16_e64 vcc_lo, 0, v144
	v_mov_b32_e32 v135, 0
	s_and_not1_b32 s7, s7, exec_lo
	s_delay_alu instid0(VALU_DEP_2) | instskip(NEXT) | instid1(SALU_CYCLE_1)
	s_and_b32 s8, vcc_lo, exec_lo
	s_or_b32 s7, s7, s8
	s_or_b32 exec_lo, exec_lo, s18
	s_and_saveexec_b32 s8, s7
	s_cbranch_execnz .LBB2_755
	s_branch .LBB2_756
.LBB2_934:                              ;   in Loop: Header=BB2_634 Depth=2
	s_mov_b32 s7, -1
	s_mov_b32 s19, exec_lo
                                        ; implicit-def: $sgpr8
	v_cmpx_eq_u16_e64 0x80, v135
; %bb.935:                              ;   in Loop: Header=BB2_634 Depth=2
	s_mov_b32 s8, 0x7f800001
	s_xor_b32 s7, exec_lo, -1
; %bb.936:                              ;   in Loop: Header=BB2_634 Depth=2
	s_or_b32 exec_lo, exec_lo, s19
	s_delay_alu instid0(SALU_CYCLE_1)
	s_and_b32 s7, s7, exec_lo
	s_or_saveexec_b32 s18, s18
	v_mov_b32_e32 v134, s8
	s_xor_b32 exec_lo, exec_lo, s18
	s_cbranch_execz .LBB2_766
.LBB2_937:                              ;   in Loop: Header=BB2_634 Depth=2
	v_cmp_ne_u16_e64 vcc_lo, 0, v135
	v_mov_b32_e32 v134, 0
	s_and_not1_b32 s7, s7, exec_lo
	s_delay_alu instid0(VALU_DEP_2) | instskip(NEXT) | instid1(SALU_CYCLE_1)
	s_and_b32 s8, vcc_lo, exec_lo
	s_or_b32 s7, s7, s8
	s_or_b32 exec_lo, exec_lo, s18
	s_and_saveexec_b32 s8, s7
	s_cbranch_execnz .LBB2_767
	s_branch .LBB2_768
.LBB2_938:                              ;   in Loop: Header=BB2_634 Depth=2
	s_mov_b32 s7, -1
	s_mov_b32 s19, exec_lo
                                        ; implicit-def: $sgpr8
	v_cmpx_eq_u16_e64 0x80, v144
; %bb.939:                              ;   in Loop: Header=BB2_634 Depth=2
	s_mov_b32 s8, 0x7f800001
	s_xor_b32 s7, exec_lo, -1
; %bb.940:                              ;   in Loop: Header=BB2_634 Depth=2
	s_or_b32 exec_lo, exec_lo, s19
	s_delay_alu instid0(SALU_CYCLE_1)
	s_and_b32 s7, s7, exec_lo
                                        ; implicit-def: $vgpr144
	s_or_saveexec_b32 s18, s18
	v_mov_b32_e32 v135, s8
	s_xor_b32 exec_lo, exec_lo, s18
	s_cbranch_execz .LBB2_770
.LBB2_941:                              ;   in Loop: Header=BB2_634 Depth=2
	v_cmp_ne_u16_e64 vcc_lo, 0, v144
	v_mov_b32_e32 v135, 0
	s_and_not1_b32 s7, s7, exec_lo
	s_delay_alu instid0(VALU_DEP_2) | instskip(NEXT) | instid1(SALU_CYCLE_1)
	s_and_b32 s8, vcc_lo, exec_lo
	s_or_b32 s7, s7, s8
	s_or_b32 exec_lo, exec_lo, s18
	s_and_saveexec_b32 s8, s7
	s_cbranch_execnz .LBB2_771
	s_branch .LBB2_772
.LBB2_942:                              ;   in Loop: Header=BB2_634 Depth=2
	s_mov_b32 s7, -1
	s_mov_b32 s19, exec_lo
                                        ; implicit-def: $sgpr8
	v_cmpx_eq_u16_e64 0x80, v144
; %bb.943:                              ;   in Loop: Header=BB2_634 Depth=2
	s_mov_b32 s8, 0x7f800001
	s_xor_b32 s7, exec_lo, -1
; %bb.944:                              ;   in Loop: Header=BB2_634 Depth=2
	s_or_b32 exec_lo, exec_lo, s19
	s_delay_alu instid0(SALU_CYCLE_1)
	s_and_b32 s7, s7, exec_lo
                                        ; implicit-def: $vgpr144
	s_or_saveexec_b32 s18, s18
	v_mov_b32_e32 v134, s8
	s_xor_b32 exec_lo, exec_lo, s18
	s_cbranch_execz .LBB2_782
.LBB2_945:                              ;   in Loop: Header=BB2_634 Depth=2
	v_cmp_ne_u16_e64 vcc_lo, 0, v144
	v_mov_b32_e32 v134, 0
	s_and_not1_b32 s7, s7, exec_lo
	s_delay_alu instid0(VALU_DEP_2) | instskip(NEXT) | instid1(SALU_CYCLE_1)
	s_and_b32 s8, vcc_lo, exec_lo
	s_or_b32 s7, s7, s8
	s_or_b32 exec_lo, exec_lo, s18
	s_and_saveexec_b32 s8, s7
	s_cbranch_execnz .LBB2_783
	s_branch .LBB2_784
.LBB2_946:                              ;   in Loop: Header=BB2_634 Depth=2
	s_mov_b32 s7, -1
	s_mov_b32 s19, exec_lo
                                        ; implicit-def: $sgpr8
	v_cmpx_eq_u16_e64 0x80, v144
; %bb.947:                              ;   in Loop: Header=BB2_634 Depth=2
	s_mov_b32 s8, 0x7f800001
	s_xor_b32 s7, exec_lo, -1
; %bb.948:                              ;   in Loop: Header=BB2_634 Depth=2
	s_or_b32 exec_lo, exec_lo, s19
	s_delay_alu instid0(SALU_CYCLE_1)
	s_and_b32 s7, s7, exec_lo
                                        ; implicit-def: $vgpr144
	s_or_saveexec_b32 s18, s18
	v_mov_b32_e32 v135, s8
	s_xor_b32 exec_lo, exec_lo, s18
	s_cbranch_execz .LBB2_786
.LBB2_949:                              ;   in Loop: Header=BB2_634 Depth=2
	v_cmp_ne_u16_e64 vcc_lo, 0, v144
	v_mov_b32_e32 v135, 0
	s_and_not1_b32 s7, s7, exec_lo
	s_delay_alu instid0(VALU_DEP_2) | instskip(NEXT) | instid1(SALU_CYCLE_1)
	s_and_b32 s8, vcc_lo, exec_lo
	s_or_b32 s7, s7, s8
	s_or_b32 exec_lo, exec_lo, s18
	s_and_saveexec_b32 s8, s7
	s_cbranch_execnz .LBB2_787
	s_branch .LBB2_788
.LBB2_950:                              ;   in Loop: Header=BB2_634 Depth=2
	s_mov_b32 s7, -1
	s_mov_b32 s19, exec_lo
                                        ; implicit-def: $sgpr8
	v_cmpx_eq_u16_e64 0x80, v135
; %bb.951:                              ;   in Loop: Header=BB2_634 Depth=2
	s_mov_b32 s8, 0x7f800001
	s_xor_b32 s7, exec_lo, -1
; %bb.952:                              ;   in Loop: Header=BB2_634 Depth=2
	s_or_b32 exec_lo, exec_lo, s19
	s_delay_alu instid0(SALU_CYCLE_1)
	s_and_b32 s7, s7, exec_lo
	s_or_saveexec_b32 s18, s18
	v_mov_b32_e32 v134, s8
	s_xor_b32 exec_lo, exec_lo, s18
	s_cbranch_execz .LBB2_798
.LBB2_953:                              ;   in Loop: Header=BB2_634 Depth=2
	v_cmp_ne_u16_e64 vcc_lo, 0, v135
	v_mov_b32_e32 v134, 0
	s_and_not1_b32 s7, s7, exec_lo
	s_delay_alu instid0(VALU_DEP_2) | instskip(NEXT) | instid1(SALU_CYCLE_1)
	s_and_b32 s8, vcc_lo, exec_lo
	s_or_b32 s7, s7, s8
	s_or_b32 exec_lo, exec_lo, s18
	s_and_saveexec_b32 s8, s7
	s_cbranch_execnz .LBB2_799
	s_branch .LBB2_800
.LBB2_954:                              ;   in Loop: Header=BB2_634 Depth=2
	s_mov_b32 s7, -1
	s_mov_b32 s19, exec_lo
                                        ; implicit-def: $sgpr8
	v_cmpx_eq_u16_e32 0x80, v17
; %bb.955:                              ;   in Loop: Header=BB2_634 Depth=2
	s_mov_b32 s8, 0x7f800001
	s_xor_b32 s7, exec_lo, -1
; %bb.956:                              ;   in Loop: Header=BB2_634 Depth=2
	s_or_b32 exec_lo, exec_lo, s19
	s_delay_alu instid0(SALU_CYCLE_1)
	s_and_b32 s7, s7, exec_lo
	s_or_saveexec_b32 s18, s18
	v_mov_b32_e32 v135, s8
	s_xor_b32 exec_lo, exec_lo, s18
	s_cbranch_execz .LBB2_802
.LBB2_957:                              ;   in Loop: Header=BB2_634 Depth=2
	v_cmp_ne_u16_e32 vcc_lo, 0, v17
	v_mov_b32_e32 v135, 0
	s_and_not1_b32 s7, s7, exec_lo
	s_and_b32 s8, vcc_lo, exec_lo
	s_delay_alu instid0(SALU_CYCLE_1)
	s_or_b32 s7, s7, s8
	s_or_b32 exec_lo, exec_lo, s18
	s_and_saveexec_b32 s8, s7
	s_cbranch_execnz .LBB2_803
	s_branch .LBB2_804
.LBB2_958:                              ;   in Loop: Header=BB2_634 Depth=2
	s_mov_b32 s7, -1
	s_mov_b32 s19, exec_lo
                                        ; implicit-def: $sgpr8
	v_cmpx_eq_u16_e32 0x80, v96
; %bb.959:                              ;   in Loop: Header=BB2_634 Depth=2
	s_mov_b32 s8, 0x7f800001
	s_xor_b32 s7, exec_lo, -1
; %bb.960:                              ;   in Loop: Header=BB2_634 Depth=2
	s_or_b32 exec_lo, exec_lo, s19
	s_delay_alu instid0(SALU_CYCLE_1)
	s_and_b32 s7, s7, exec_lo
                                        ; implicit-def: $vgpr96
	s_or_saveexec_b32 s18, s18
	v_mov_b32_e32 v134, s8
	s_xor_b32 exec_lo, exec_lo, s18
	s_cbranch_execz .LBB2_814
.LBB2_961:                              ;   in Loop: Header=BB2_634 Depth=2
	v_cmp_ne_u16_e32 vcc_lo, 0, v96
	v_mov_b32_e32 v134, 0
	s_and_not1_b32 s7, s7, exec_lo
	s_and_b32 s8, vcc_lo, exec_lo
	s_delay_alu instid0(SALU_CYCLE_1)
	s_or_b32 s7, s7, s8
	s_or_b32 exec_lo, exec_lo, s18
	s_and_saveexec_b32 s8, s7
	s_cbranch_execnz .LBB2_815
	s_branch .LBB2_816
.LBB2_962:                              ;   in Loop: Header=BB2_634 Depth=2
	s_mov_b32 s7, -1
	s_mov_b32 s19, exec_lo
                                        ; implicit-def: $sgpr8
	v_cmpx_eq_u16_e64 0x80, v135
; %bb.963:                              ;   in Loop: Header=BB2_634 Depth=2
	s_mov_b32 s8, 0x7f800001
	s_xor_b32 s7, exec_lo, -1
; %bb.964:                              ;   in Loop: Header=BB2_634 Depth=2
	s_or_b32 exec_lo, exec_lo, s19
	s_delay_alu instid0(SALU_CYCLE_1)
	s_and_b32 s7, s7, exec_lo
                                        ; implicit-def: $vgpr135
	s_or_saveexec_b32 s18, s18
	v_mov_b32_e32 v81, s8
	s_xor_b32 exec_lo, exec_lo, s18
	s_cbranch_execz .LBB2_818
.LBB2_965:                              ;   in Loop: Header=BB2_634 Depth=2
	v_cmp_ne_u16_e64 vcc_lo, 0, v135
	v_mov_b32_e32 v81, 0
	s_and_not1_b32 s7, s7, exec_lo
	s_delay_alu instid0(VALU_DEP_2) | instskip(NEXT) | instid1(SALU_CYCLE_1)
	s_and_b32 s8, vcc_lo, exec_lo
	s_or_b32 s7, s7, s8
	s_or_b32 exec_lo, exec_lo, s18
	s_and_saveexec_b32 s8, s7
	s_cbranch_execnz .LBB2_819
	s_branch .LBB2_820
.LBB2_966:                              ;   in Loop: Header=BB2_634 Depth=2
	s_mov_b32 s7, -1
	s_mov_b32 s19, exec_lo
                                        ; implicit-def: $sgpr8
	v_cmpx_eq_u16_e64 0x80, v134
; %bb.967:                              ;   in Loop: Header=BB2_634 Depth=2
	s_mov_b32 s8, 0x7f800001
	s_xor_b32 s7, exec_lo, -1
; %bb.968:                              ;   in Loop: Header=BB2_634 Depth=2
	s_or_b32 exec_lo, exec_lo, s19
	s_delay_alu instid0(SALU_CYCLE_1)
	s_and_b32 s7, s7, exec_lo
	s_or_saveexec_b32 s18, s18
	v_mov_b32_e32 v96, s8
	s_xor_b32 exec_lo, exec_lo, s18
	s_cbranch_execz .LBB2_830
.LBB2_969:                              ;   in Loop: Header=BB2_634 Depth=2
	v_cmp_ne_u16_e64 vcc_lo, 0, v134
	v_mov_b32_e32 v96, 0
	s_and_not1_b32 s7, s7, exec_lo
	s_delay_alu instid0(VALU_DEP_2) | instskip(NEXT) | instid1(SALU_CYCLE_1)
	s_and_b32 s8, vcc_lo, exec_lo
	s_or_b32 s7, s7, s8
	s_or_b32 exec_lo, exec_lo, s18
	s_and_saveexec_b32 s8, s7
	s_cbranch_execnz .LBB2_831
	s_branch .LBB2_832
.LBB2_970:                              ;   in Loop: Header=BB2_634 Depth=2
	s_mov_b32 s7, -1
	s_mov_b32 s19, exec_lo
                                        ; implicit-def: $sgpr8
	v_cmpx_eq_u16_e64 0x80, v134
; %bb.971:                              ;   in Loop: Header=BB2_634 Depth=2
	s_mov_b32 s8, 0x7f800001
	s_xor_b32 s7, exec_lo, -1
; %bb.972:                              ;   in Loop: Header=BB2_634 Depth=2
	s_or_b32 exec_lo, exec_lo, s19
	s_delay_alu instid0(SALU_CYCLE_1)
	s_and_b32 s7, s7, exec_lo
	s_or_saveexec_b32 s18, s18
	v_mov_b32_e32 v135, s8
	s_xor_b32 exec_lo, exec_lo, s18
	s_cbranch_execz .LBB2_834
.LBB2_973:                              ;   in Loop: Header=BB2_634 Depth=2
	v_cmp_ne_u16_e64 vcc_lo, 0, v134
	v_mov_b32_e32 v135, 0
	s_and_not1_b32 s7, s7, exec_lo
	s_delay_alu instid0(VALU_DEP_2) | instskip(NEXT) | instid1(SALU_CYCLE_1)
	s_and_b32 s8, vcc_lo, exec_lo
	s_or_b32 s7, s7, s8
	s_or_b32 exec_lo, exec_lo, s18
	s_and_saveexec_b32 s8, s7
	s_cbranch_execnz .LBB2_835
	s_branch .LBB2_836
.LBB2_974:                              ;   in Loop: Header=BB2_634 Depth=2
	s_mov_b32 s7, -1
	s_mov_b32 s19, exec_lo
                                        ; implicit-def: $sgpr8
	v_cmpx_eq_u16_e64 0x80, v144
; %bb.975:                              ;   in Loop: Header=BB2_634 Depth=2
	s_mov_b32 s8, 0x7f800001
	s_xor_b32 s7, exec_lo, -1
; %bb.976:                              ;   in Loop: Header=BB2_634 Depth=2
	s_or_b32 exec_lo, exec_lo, s19
	s_delay_alu instid0(SALU_CYCLE_1)
	s_and_b32 s7, s7, exec_lo
                                        ; implicit-def: $vgpr144
	s_or_saveexec_b32 s18, s18
	v_mov_b32_e32 v134, s8
	s_xor_b32 exec_lo, exec_lo, s18
	s_cbranch_execz .LBB2_846
.LBB2_977:                              ;   in Loop: Header=BB2_634 Depth=2
	v_cmp_ne_u16_e64 vcc_lo, 0, v144
	v_mov_b32_e32 v134, 0
	s_and_not1_b32 s7, s7, exec_lo
	s_delay_alu instid0(VALU_DEP_2) | instskip(NEXT) | instid1(SALU_CYCLE_1)
	s_and_b32 s8, vcc_lo, exec_lo
	s_or_b32 s7, s7, s8
	s_or_b32 exec_lo, exec_lo, s18
	s_and_saveexec_b32 s8, s7
	s_cbranch_execnz .LBB2_847
	s_branch .LBB2_848
.LBB2_978:                              ;   in Loop: Header=BB2_634 Depth=2
	s_mov_b32 s7, -1
	s_mov_b32 s19, exec_lo
                                        ; implicit-def: $sgpr8
	v_cmpx_eq_u16_e32 0x80, v87
; %bb.979:                              ;   in Loop: Header=BB2_634 Depth=2
	s_mov_b32 s8, 0x7f800001
	s_xor_b32 s7, exec_lo, -1
; %bb.980:                              ;   in Loop: Header=BB2_634 Depth=2
	s_or_b32 exec_lo, exec_lo, s19
	s_delay_alu instid0(SALU_CYCLE_1)
	s_and_b32 s7, s7, exec_lo
                                        ; implicit-def: $vgpr87
	s_or_saveexec_b32 s18, s18
	v_mov_b32_e32 v135, s8
	s_xor_b32 exec_lo, exec_lo, s18
	s_cbranch_execz .LBB2_850
.LBB2_981:                              ;   in Loop: Header=BB2_634 Depth=2
	v_cmp_ne_u16_e32 vcc_lo, 0, v87
	v_mov_b32_e32 v135, 0
	s_and_not1_b32 s7, s7, exec_lo
	s_and_b32 s8, vcc_lo, exec_lo
	s_delay_alu instid0(SALU_CYCLE_1)
	s_or_b32 s7, s7, s8
	s_or_b32 exec_lo, exec_lo, s18
	v_lshl_or_b32 v87, v18, 16, v133
	s_and_saveexec_b32 s8, s7
	s_cbranch_execnz .LBB2_851
	s_branch .LBB2_852
.LBB2_982:                              ;   in Loop: Header=BB2_634 Depth=2
	s_mov_b32 s7, -1
	s_mov_b32 s19, exec_lo
                                        ; implicit-def: $sgpr8
	v_cmpx_eq_u16_e64 0x80, v134
; %bb.983:                              ;   in Loop: Header=BB2_634 Depth=2
	s_mov_b32 s8, 0x7f800001
	s_xor_b32 s7, exec_lo, -1
; %bb.984:                              ;   in Loop: Header=BB2_634 Depth=2
	s_or_b32 exec_lo, exec_lo, s19
	s_delay_alu instid0(SALU_CYCLE_1)
	s_and_b32 s7, s7, exec_lo
	s_or_saveexec_b32 s18, s18
	v_mov_b32_e32 v133, s8
	s_xor_b32 exec_lo, exec_lo, s18
	s_cbranch_execz .LBB2_862
.LBB2_985:                              ;   in Loop: Header=BB2_634 Depth=2
	v_cmp_ne_u16_e64 vcc_lo, 0, v134
	v_mov_b32_e32 v133, 0
	s_and_not1_b32 s7, s7, exec_lo
	s_delay_alu instid0(VALU_DEP_2) | instskip(NEXT) | instid1(SALU_CYCLE_1)
	s_and_b32 s8, vcc_lo, exec_lo
	s_or_b32 s7, s7, s8
	s_or_b32 exec_lo, exec_lo, s18
	s_and_saveexec_b32 s8, s7
	s_cbranch_execnz .LBB2_863
	s_branch .LBB2_864
.LBB2_986:                              ;   in Loop: Header=BB2_634 Depth=2
	s_mov_b32 s7, -1
	s_mov_b32 s19, exec_lo
                                        ; implicit-def: $sgpr8
	v_cmpx_eq_u16_e32 0x80, v19
; %bb.987:                              ;   in Loop: Header=BB2_634 Depth=2
	s_mov_b32 s8, 0x7f800001
	s_xor_b32 s7, exec_lo, -1
; %bb.988:                              ;   in Loop: Header=BB2_634 Depth=2
	s_or_b32 exec_lo, exec_lo, s19
	s_delay_alu instid0(SALU_CYCLE_1)
	s_and_b32 s7, s7, exec_lo
	s_or_saveexec_b32 s18, s18
	v_mov_b32_e32 v134, s8
	s_xor_b32 exec_lo, exec_lo, s18
	s_cbranch_execz .LBB2_866
.LBB2_989:                              ;   in Loop: Header=BB2_634 Depth=2
	v_cmp_ne_u16_e32 vcc_lo, 0, v19
	v_mov_b32_e32 v134, 0
	s_and_not1_b32 s7, s7, exec_lo
	s_and_b32 s8, vcc_lo, exec_lo
	s_delay_alu instid0(SALU_CYCLE_1)
	s_or_b32 s7, s7, s8
	s_or_b32 exec_lo, exec_lo, s18
	s_and_saveexec_b32 s8, s7
	s_cbranch_execnz .LBB2_867
	s_branch .LBB2_868
.LBB2_990:                              ;   in Loop: Header=BB2_40 Depth=1
	s_or_b32 exec_lo, exec_lo, s17
.LBB2_991:                              ;   in Loop: Header=BB2_40 Depth=1
	s_delay_alu instid0(SALU_CYCLE_1)
	s_or_b32 exec_lo, exec_lo, s9
	s_and_saveexec_b32 s7, s3
	s_cbranch_execz .LBB2_1013
; %bb.992:                              ;   in Loop: Header=BB2_40 Depth=1
	s_and_saveexec_b32 s8, s4
	s_delay_alu instid0(SALU_CYCLE_1)
	s_xor_b32 s8, exec_lo, s8
	s_cbranch_execz .LBB2_1010
; %bb.993:                              ;   in Loop: Header=BB2_40 Depth=1
	s_and_saveexec_b32 s9, s5
	s_cbranch_execz .LBB2_1009
; %bb.994:                              ;   in Loop: Header=BB2_40 Depth=1
	s_mov_b32 s18, exec_lo
	s_mov_b32 s17, exec_lo
	v_mbcnt_lo_u32_b32 v17, s18, 0
	s_waitcnt vmcnt(0) lgkmcnt(0)
	s_waitcnt_vscnt null, 0x0
	buffer_gl1_inv
	buffer_gl0_inv
	v_cmpx_eq_u32_e32 0, v17
	s_cbranch_execz .LBB2_996
; %bb.995:                              ;   in Loop: Header=BB2_40 Depth=1
	s_bcnt1_i32_b32 s18, s18
	s_delay_alu instid0(SALU_CYCLE_1)
	v_mov_b32_e32 v54, s18
	ds_add_u64 v0, v[54:55]
	s_cbranch_execnz .LBB2_1082
.LBB2_996:                              ;   in Loop: Header=BB2_40 Depth=1
	s_or_b32 exec_lo, exec_lo, s17
	s_cbranch_execnz .LBB2_1070
; %bb.997:                              ;   in Loop: Header=BB2_40 Depth=1
	ds_load_b64 v[17:18], v0
	v_add_co_u32 v2, vcc_lo, v2, v101
	v_add_co_ci_u32_e32 v3, vcc_lo, v3, v112, vcc_lo
	s_mov_b32 s17, exec_lo
	s_waitcnt lgkmcnt(0)
	s_delay_alu instid0(VALU_DEP_1)
	v_cmpx_lt_u64_e64 v[17:18], v[2:3]
	s_cbranch_execz .LBB2_1008
; %bb.998:                              ;   in Loop: Header=BB2_40 Depth=1
	s_mov_b32 s18, 0
	s_mov_b32 s21, 0
                                        ; implicit-def: $sgpr19
                                        ; implicit-def: $sgpr20
	s_branch .LBB2_1000
.LBB2_999:                              ;   in Loop: Header=BB2_1000 Depth=2
	s_or_b32 exec_lo, exec_lo, s24
	s_delay_alu instid0(SALU_CYCLE_1) | instskip(NEXT) | instid1(SALU_CYCLE_1)
	s_and_b32 s22, exec_lo, s23
	s_or_b32 s18, s22, s18
	s_and_not1_b32 s19, s19, exec_lo
	s_and_b32 s22, s20, exec_lo
	s_delay_alu instid0(SALU_CYCLE_1)
	s_or_b32 s19, s19, s22
	s_and_not1_b32 exec_lo, exec_lo, s18
	s_cbranch_execz .LBB2_1006
.LBB2_1000:                             ;   Parent Loop BB2_40 Depth=1
                                        ; =>  This Inner Loop Header: Depth=2
	s_add_i32 s21, s21, 1
                                        ; implicit-def: $sgpr23
	s_delay_alu instid0(SALU_CYCLE_1) | instskip(SKIP_1) | instid1(SALU_CYCLE_1)
	s_cmpk_lg_i32 s21, 0x2710
	s_cselect_b32 s22, -1, 0
	s_and_b32 vcc_lo, exec_lo, s22
	s_cbranch_vccz .LBB2_1004
.LBB2_1001:                             ;   in Loop: Header=BB2_1000 Depth=2
	s_and_not1_b32 s20, s20, exec_lo
	s_and_b32 s24, s23, exec_lo
	s_mov_b32 s23, -1
	s_or_b32 s20, s20, s24
	s_and_saveexec_b32 s24, s22
	s_cbranch_execz .LBB2_999
; %bb.1002:                             ;   in Loop: Header=BB2_1000 Depth=2
	s_sleep 1
	s_cbranch_execnz .LBB2_1090
; %bb.1003:                             ;   in Loop: Header=BB2_1000 Depth=2
	ds_load_b64 v[17:18], v0
	s_and_not1_b32 s20, s20, exec_lo
	s_waitcnt lgkmcnt(0)
	v_cmp_ge_u64_e32 vcc_lo, v[17:18], v[2:3]
	s_or_not1_b32 s23, vcc_lo, exec_lo
	s_branch .LBB2_999
.LBB2_1004:                             ;   in Loop: Header=BB2_1000 Depth=2
	s_cbranch_execnz .LBB2_1092
; %bb.1005:                             ;   in Loop: Header=BB2_1000 Depth=2
	ds_load_b64 v[17:18], v0
	s_and_not1_b32 s22, s22, exec_lo
	s_mov_b32 s21, 0
	s_mov_b32 s23, -1
	s_waitcnt lgkmcnt(0)
	flat_load_b32 v17, v[17:18] glc
	s_waitcnt vmcnt(0) lgkmcnt(0)
	buffer_gl1_inv
	buffer_gl0_inv
	v_cmp_eq_u32_e32 vcc_lo, 0, v17
	s_and_b32 s24, vcc_lo, exec_lo
	s_delay_alu instid0(SALU_CYCLE_1)
	s_or_b32 s22, s22, s24
	s_branch .LBB2_1001
.LBB2_1006:                             ;   in Loop: Header=BB2_40 Depth=1
	s_or_b32 exec_lo, exec_lo, s18
	s_and_saveexec_b32 s18, s19
	s_delay_alu instid0(SALU_CYCLE_1)
	s_xor_b32 s18, exec_lo, s18
	s_cbranch_execz .LBB2_1008
; %bb.1007:                             ;   in Loop: Header=BB2_40 Depth=1
	ds_store_b32 v0, v130
	s_cbranch_execnz .LBB2_1109
.LBB2_1008:                             ;   in Loop: Header=BB2_40 Depth=1
	s_or_b32 exec_lo, exec_lo, s17
	;;#ASMSTART
	s_wakeup
	;;#ASMEND
.LBB2_1009:                             ;   in Loop: Header=BB2_40 Depth=1
	s_or_b32 exec_lo, exec_lo, s9
.LBB2_1010:                             ;   in Loop: Header=BB2_40 Depth=1
	s_and_not1_saveexec_b32 s8, s8
	s_cbranch_execz .LBB2_1012
; %bb.1011:                             ;   in Loop: Header=BB2_40 Depth=1
	s_waitcnt vmcnt(0) lgkmcnt(0)
	s_waitcnt_vscnt null, 0x0
	buffer_gl1_inv
	buffer_gl0_inv
	s_barrier
.LBB2_1012:                             ;   in Loop: Header=BB2_40 Depth=1
	s_or_b32 exec_lo, exec_lo, s8
.LBB2_1013:                             ;   in Loop: Header=BB2_40 Depth=1
	s_delay_alu instid0(SALU_CYCLE_1)
	s_or_b32 exec_lo, exec_lo, s7
	s_and_saveexec_b32 s7, s6
	s_cbranch_execz .LBB2_1015
; %bb.1014:                             ;   in Loop: Header=BB2_40 Depth=1
	v_add_co_u32 v48, vcc_lo, v48, 1
	v_add_co_ci_u32_e32 v49, vcc_lo, 0, v49, vcc_lo
	s_waitcnt vmcnt(0) lgkmcnt(0)
	s_waitcnt_vscnt null, 0x0
	flat_store_b64 v[36:37], v[48:49]
.LBB2_1015:                             ;   in Loop: Header=BB2_40 Depth=1
	s_or_b32 exec_lo, exec_lo, s7
	v_add_co_u32 v9, vcc_lo, v9, v64
	v_add_co_ci_u32_e32 v10, vcc_lo, 0, v10, vcc_lo
	v_add_co_u32 v32, vcc_lo, v32, 1
	v_add_co_ci_u32_e32 v33, vcc_lo, 0, v33, vcc_lo
	s_delay_alu instid0(VALU_DEP_3) | instskip(SKIP_1) | instid1(VALU_DEP_1)
	v_cmp_ge_u64_e32 vcc_lo, v[9:10], v[7:8]
	v_add_co_u32 v5, s7, v5, v64
	v_add_co_ci_u32_e64 v6, s7, 0, v6, s7
	s_or_b32 s15, vcc_lo, s15
	s_delay_alu instid0(SALU_CYCLE_1)
	s_and_not1_b32 exec_lo, exec_lo, s15
	s_cbranch_execnz .LBB2_40
; %bb.1016:
	s_or_b32 exec_lo, exec_lo, s15
.LBB2_1017:
	s_delay_alu instid0(SALU_CYCLE_1)
	s_or_b32 exec_lo, exec_lo, s13
	s_and_saveexec_b32 s1, s12
	s_cbranch_execz .LBB2_1019
; %bb.1018:
	s_waitcnt lgkmcnt(0)
	flat_store_b64 v[27:28], v[48:49] offset:104
.LBB2_1019:
	s_or_b32 exec_lo, exec_lo, s1
	s_and_saveexec_b32 s1, s0
	s_cbranch_execz .LBB2_1021
; %bb.1020:
	s_waitcnt lgkmcnt(0)
	flat_store_b64 v[34:35], v[15:16] offset:104
.LBB2_1021:
	s_or_b32 exec_lo, exec_lo, s1
	s_delay_alu instid0(SALU_CYCLE_1)
	s_mov_b32 s0, exec_lo
	v_cmpx_ne_u32_e32 32, v1
	s_cbranch_execz .LBB2_1100
; %bb.1022:
	s_mov_b32 s1, exec_lo
	v_cmpx_ne_u32_e64 v98, v1
	s_xor_b32 s1, exec_lo, s1
	s_cbranch_execz .LBB2_1098
; %bb.1023:
	v_and_b32_e32 v0, 31, v31
	s_mov_b32 s2, exec_lo
	s_delay_alu instid0(VALU_DEP_1)
	v_cmpx_eq_u32_e32 0, v0
	s_cbranch_execz .LBB2_1097
; %bb.1024:
	s_mov_b32 s4, exec_lo
	s_mov_b32 s3, exec_lo
	v_mbcnt_lo_u32_b32 v0, s4, 0
	s_waitcnt vmcnt(0) lgkmcnt(0)
	s_waitcnt_vscnt null, 0x0
	buffer_gl1_inv
	buffer_gl0_inv
	v_cmpx_eq_u32_e32 0, v0
	s_cbranch_execz .LBB2_1026
; %bb.1025:
	s_bcnt1_i32_b32 s4, s4
	s_delay_alu instid0(SALU_CYCLE_1)
	v_dual_mov_b32 v5, 0 :: v_dual_mov_b32 v4, s4
	ds_add_u64 v0, v[4:5]
	s_cbranch_execnz .LBB2_1058
.LBB2_1026:
	s_or_b32 exec_lo, exec_lo, s3
	s_cbranch_execnz .LBB2_1043
; %bb.1027:
	v_ashrrev_i32_e32 v0, 31, v1
	s_mov_b32 s3, exec_lo
	s_delay_alu instid0(VALU_DEP_1) | instskip(NEXT) | instid1(VALU_DEP_1)
	v_lshrrev_b32_e32 v0, 27, v0
	v_add_nc_u32_e32 v0, v1, v0
	ds_load_b64 v[4:5], v0
	v_ashrrev_i32_e32 v0, 5, v0
	s_delay_alu instid0(VALU_DEP_1) | instskip(SKIP_1) | instid1(VALU_DEP_2)
	v_ashrrev_i32_e32 v1, 31, v0
	v_add_co_u32 v0, vcc_lo, v2, v0
	v_add_co_ci_u32_e32 v1, vcc_lo, v3, v1, vcc_lo
	s_waitcnt lgkmcnt(0)
	s_delay_alu instid0(VALU_DEP_1)
	v_cmpx_lt_u64_e64 v[4:5], v[0:1]
	s_cbranch_execz .LBB2_1096
; %bb.1028:
	s_mov_b32 s4, 0
	s_mov_b32 s7, 0
                                        ; implicit-def: $sgpr5
                                        ; implicit-def: $sgpr6
	s_branch .LBB2_1048
.LBB2_1029:
	s_trap 2
	s_sendmsg_rtn_b32 s0, sendmsg(MSG_RTN_GET_DOORBELL)
	s_mov_b32 ttmp2, m0
	s_waitcnt lgkmcnt(0)
	s_and_b32 s0, s0, 0x3ff
	s_delay_alu instid0(SALU_CYCLE_1) | instskip(NEXT) | instid1(SALU_CYCLE_1)
	s_bitset1_b32 s0, 10
	s_mov_b32 m0, s0
	s_sendmsg sendmsg(MSG_INTERRUPT)
	s_mov_b32 m0, ttmp2
.LBB2_1030:                             ; =>This Inner Loop Header: Depth=1
	s_sethalt 5
	s_branch .LBB2_1030
.LBB2_1031:
	s_trap 2
	s_sendmsg_rtn_b32 s0, sendmsg(MSG_RTN_GET_DOORBELL)
	s_mov_b32 ttmp2, m0
	s_waitcnt lgkmcnt(0)
	s_and_b32 s0, s0, 0x3ff
	s_delay_alu instid0(SALU_CYCLE_1) | instskip(NEXT) | instid1(SALU_CYCLE_1)
	s_bitset1_b32 s0, 10
	s_mov_b32 m0, s0
	s_sendmsg sendmsg(MSG_INTERRUPT)
	s_mov_b32 m0, ttmp2
.LBB2_1032:                             ; =>This Inner Loop Header: Depth=1
	s_sethalt 5
	s_branch .LBB2_1032
.LBB2_1033:
	s_trap 2
	s_sendmsg_rtn_b32 s0, sendmsg(MSG_RTN_GET_DOORBELL)
	s_mov_b32 ttmp2, m0
	s_waitcnt lgkmcnt(0)
	s_and_b32 s0, s0, 0x3ff
	s_delay_alu instid0(SALU_CYCLE_1) | instskip(NEXT) | instid1(SALU_CYCLE_1)
	s_bitset1_b32 s0, 10
	s_mov_b32 m0, s0
	s_sendmsg sendmsg(MSG_INTERRUPT)
	s_mov_b32 m0, ttmp2
.LBB2_1034:                             ; =>This Inner Loop Header: Depth=1
	s_sethalt 5
	s_branch .LBB2_1034
.LBB2_1035:
	s_trap 2
	s_sendmsg_rtn_b32 s0, sendmsg(MSG_RTN_GET_DOORBELL)
	s_mov_b32 ttmp2, m0
	s_waitcnt lgkmcnt(0)
	s_and_b32 s0, s0, 0x3ff
	s_delay_alu instid0(SALU_CYCLE_1) | instskip(NEXT) | instid1(SALU_CYCLE_1)
	s_bitset1_b32 s0, 10
	s_mov_b32 m0, s0
	s_sendmsg sendmsg(MSG_INTERRUPT)
	s_mov_b32 m0, ttmp2
.LBB2_1036:                             ; =>This Inner Loop Header: Depth=1
	s_sethalt 5
	s_branch .LBB2_1036
.LBB2_1037:
	s_trap 2
	s_sendmsg_rtn_b32 s0, sendmsg(MSG_RTN_GET_DOORBELL)
	s_mov_b32 ttmp2, m0
	s_waitcnt lgkmcnt(0)
	s_and_b32 s0, s0, 0x3ff
	s_delay_alu instid0(SALU_CYCLE_1) | instskip(NEXT) | instid1(SALU_CYCLE_1)
	s_bitset1_b32 s0, 10
	s_mov_b32 m0, s0
	s_sendmsg sendmsg(MSG_INTERRUPT)
	s_mov_b32 m0, ttmp2
.LBB2_1038:                             ; =>This Inner Loop Header: Depth=1
	s_sethalt 5
	s_branch .LBB2_1038
.LBB2_1039:
	s_trap 2
	s_sendmsg_rtn_b32 s0, sendmsg(MSG_RTN_GET_DOORBELL)
	s_mov_b32 ttmp2, m0
	s_waitcnt lgkmcnt(0)
	s_and_b32 s0, s0, 0x3ff
	s_delay_alu instid0(SALU_CYCLE_1) | instskip(NEXT) | instid1(SALU_CYCLE_1)
	s_bitset1_b32 s0, 10
	s_mov_b32 m0, s0
	s_sendmsg sendmsg(MSG_INTERRUPT)
	s_mov_b32 m0, ttmp2
.LBB2_1040:                             ; =>This Inner Loop Header: Depth=1
	s_sethalt 5
	s_branch .LBB2_1040
.LBB2_1041:
	s_trap 2
	s_sendmsg_rtn_b32 s0, sendmsg(MSG_RTN_GET_DOORBELL)
	s_mov_b32 ttmp2, m0
	s_waitcnt lgkmcnt(0)
	s_and_b32 s0, s0, 0x3ff
	s_delay_alu instid0(SALU_CYCLE_1) | instskip(NEXT) | instid1(SALU_CYCLE_1)
	s_bitset1_b32 s0, 10
	s_mov_b32 m0, s0
	s_sendmsg sendmsg(MSG_INTERRUPT)
	s_mov_b32 m0, ttmp2
.LBB2_1042:                             ; =>This Inner Loop Header: Depth=1
	s_sethalt 5
	s_branch .LBB2_1042
.LBB2_1043:
	s_trap 2
	s_sendmsg_rtn_b32 s0, sendmsg(MSG_RTN_GET_DOORBELL)
	s_mov_b32 ttmp2, m0
	s_waitcnt lgkmcnt(0)
	s_and_b32 s0, s0, 0x3ff
	s_delay_alu instid0(SALU_CYCLE_1) | instskip(NEXT) | instid1(SALU_CYCLE_1)
	s_bitset1_b32 s0, 10
	s_mov_b32 m0, s0
	s_sendmsg sendmsg(MSG_INTERRUPT)
	s_mov_b32 m0, ttmp2
.LBB2_1044:                             ; =>This Inner Loop Header: Depth=1
	s_sethalt 5
	s_branch .LBB2_1044
.LBB2_1045:
	s_trap 2
	s_sendmsg_rtn_b32 s0, sendmsg(MSG_RTN_GET_DOORBELL)
	s_mov_b32 ttmp2, m0
	s_waitcnt lgkmcnt(0)
	s_and_b32 s0, s0, 0x3ff
	s_delay_alu instid0(SALU_CYCLE_1) | instskip(NEXT) | instid1(SALU_CYCLE_1)
	s_bitset1_b32 s0, 10
	s_mov_b32 m0, s0
	s_sendmsg sendmsg(MSG_INTERRUPT)
	s_mov_b32 m0, ttmp2
.LBB2_1046:                             ; =>This Inner Loop Header: Depth=1
	s_sethalt 5
	s_branch .LBB2_1046
.LBB2_1047:                             ;   in Loop: Header=BB2_1048 Depth=1
	s_or_b32 exec_lo, exec_lo, s10
	s_delay_alu instid0(SALU_CYCLE_1) | instskip(NEXT) | instid1(SALU_CYCLE_1)
	s_and_b32 s8, exec_lo, s9
	s_or_b32 s4, s8, s4
	s_and_not1_b32 s5, s5, exec_lo
	s_and_b32 s8, s6, exec_lo
	s_delay_alu instid0(SALU_CYCLE_1)
	s_or_b32 s5, s5, s8
	s_and_not1_b32 exec_lo, exec_lo, s4
	s_cbranch_execz .LBB2_1094
.LBB2_1048:                             ; =>This Inner Loop Header: Depth=1
	s_add_i32 s7, s7, 1
                                        ; implicit-def: $sgpr9
	s_delay_alu instid0(SALU_CYCLE_1) | instskip(SKIP_1) | instid1(SALU_CYCLE_1)
	s_cmpk_lg_i32 s7, 0x2710
	s_cselect_b32 s8, -1, 0
	s_and_b32 vcc_lo, exec_lo, s8
	s_cbranch_vccz .LBB2_1052
.LBB2_1049:                             ;   in Loop: Header=BB2_1048 Depth=1
	s_and_not1_b32 s6, s6, exec_lo
	s_and_b32 s10, s9, exec_lo
	s_mov_b32 s9, -1
	s_or_b32 s6, s6, s10
	s_and_saveexec_b32 s10, s8
	s_cbranch_execz .LBB2_1047
; %bb.1050:                             ;   in Loop: Header=BB2_1048 Depth=1
	s_sleep 1
	s_cbranch_execnz .LBB2_1072
; %bb.1051:                             ;   in Loop: Header=BB2_1048 Depth=1
	ds_load_b64 v[2:3], v0
	s_and_not1_b32 s6, s6, exec_lo
	s_waitcnt lgkmcnt(0)
	v_cmp_ge_u64_e32 vcc_lo, v[2:3], v[0:1]
	s_or_not1_b32 s9, vcc_lo, exec_lo
	s_branch .LBB2_1047
.LBB2_1052:                             ;   in Loop: Header=BB2_1048 Depth=1
	s_cbranch_execnz .LBB2_1078
; %bb.1053:                             ;   in Loop: Header=BB2_1048 Depth=1
	ds_load_b64 v[2:3], v0
	s_and_not1_b32 s8, s8, exec_lo
	s_mov_b32 s7, 0
	s_mov_b32 s9, -1
	s_waitcnt lgkmcnt(0)
	flat_load_b32 v2, v[2:3] glc
	s_waitcnt vmcnt(0) lgkmcnt(0)
	buffer_gl1_inv
	buffer_gl0_inv
	v_cmp_eq_u32_e32 vcc_lo, 0, v2
	s_and_b32 s10, vcc_lo, exec_lo
	s_delay_alu instid0(SALU_CYCLE_1)
	s_or_b32 s8, s8, s10
	s_branch .LBB2_1049
.LBB2_1054:
	s_trap 2
	s_sendmsg_rtn_b32 s0, sendmsg(MSG_RTN_GET_DOORBELL)
	s_mov_b32 ttmp2, m0
	s_waitcnt lgkmcnt(0)
	s_and_b32 s0, s0, 0x3ff
	s_delay_alu instid0(SALU_CYCLE_1) | instskip(NEXT) | instid1(SALU_CYCLE_1)
	s_bitset1_b32 s0, 10
	s_mov_b32 m0, s0
	s_sendmsg sendmsg(MSG_INTERRUPT)
	s_mov_b32 m0, ttmp2
.LBB2_1055:                             ; =>This Inner Loop Header: Depth=1
	s_sethalt 5
	s_branch .LBB2_1055
.LBB2_1056:
	s_trap 2
	s_sendmsg_rtn_b32 s0, sendmsg(MSG_RTN_GET_DOORBELL)
	s_mov_b32 ttmp2, m0
	s_waitcnt lgkmcnt(0)
	s_and_b32 s0, s0, 0x3ff
	s_delay_alu instid0(SALU_CYCLE_1) | instskip(NEXT) | instid1(SALU_CYCLE_1)
	s_bitset1_b32 s0, 10
	s_mov_b32 m0, s0
	s_sendmsg sendmsg(MSG_INTERRUPT)
	s_mov_b32 m0, ttmp2
.LBB2_1057:                             ; =>This Inner Loop Header: Depth=1
	s_sethalt 5
	s_branch .LBB2_1057
.LBB2_1058:
	s_trap 2
	s_sendmsg_rtn_b32 s0, sendmsg(MSG_RTN_GET_DOORBELL)
	s_mov_b32 ttmp2, m0
	s_waitcnt lgkmcnt(0)
	s_and_b32 s0, s0, 0x3ff
	s_delay_alu instid0(SALU_CYCLE_1) | instskip(NEXT) | instid1(SALU_CYCLE_1)
	s_bitset1_b32 s0, 10
	s_mov_b32 m0, s0
	s_sendmsg sendmsg(MSG_INTERRUPT)
	s_mov_b32 m0, ttmp2
.LBB2_1059:                             ; =>This Inner Loop Header: Depth=1
	s_sethalt 5
	s_branch .LBB2_1059
.LBB2_1060:
	s_trap 2
	s_sendmsg_rtn_b32 s0, sendmsg(MSG_RTN_GET_DOORBELL)
	s_mov_b32 ttmp2, m0
	s_waitcnt lgkmcnt(0)
	s_and_b32 s0, s0, 0x3ff
	s_delay_alu instid0(SALU_CYCLE_1) | instskip(NEXT) | instid1(SALU_CYCLE_1)
	s_bitset1_b32 s0, 10
	s_mov_b32 m0, s0
	s_sendmsg sendmsg(MSG_INTERRUPT)
	s_mov_b32 m0, ttmp2
.LBB2_1061:                             ; =>This Inner Loop Header: Depth=1
	s_sethalt 5
	s_branch .LBB2_1061
.LBB2_1062:
	s_trap 2
	s_sendmsg_rtn_b32 s0, sendmsg(MSG_RTN_GET_DOORBELL)
	s_mov_b32 ttmp2, m0
	s_waitcnt lgkmcnt(0)
	s_and_b32 s0, s0, 0x3ff
	s_delay_alu instid0(SALU_CYCLE_1) | instskip(NEXT) | instid1(SALU_CYCLE_1)
	s_bitset1_b32 s0, 10
	s_mov_b32 m0, s0
	s_sendmsg sendmsg(MSG_INTERRUPT)
	s_mov_b32 m0, ttmp2
.LBB2_1063:                             ; =>This Inner Loop Header: Depth=1
	s_sethalt 5
	s_branch .LBB2_1063
.LBB2_1064:
	s_trap 2
	s_sendmsg_rtn_b32 s0, sendmsg(MSG_RTN_GET_DOORBELL)
	s_mov_b32 ttmp2, m0
	s_waitcnt lgkmcnt(0)
	s_and_b32 s0, s0, 0x3ff
	s_delay_alu instid0(SALU_CYCLE_1) | instskip(NEXT) | instid1(SALU_CYCLE_1)
	s_bitset1_b32 s0, 10
	s_mov_b32 m0, s0
	s_sendmsg sendmsg(MSG_INTERRUPT)
	s_mov_b32 m0, ttmp2
.LBB2_1065:                             ; =>This Inner Loop Header: Depth=1
	s_sethalt 5
	s_branch .LBB2_1065
.LBB2_1066:
	s_trap 2
	s_sendmsg_rtn_b32 s0, sendmsg(MSG_RTN_GET_DOORBELL)
	s_mov_b32 ttmp2, m0
	s_waitcnt lgkmcnt(0)
	s_and_b32 s0, s0, 0x3ff
	s_delay_alu instid0(SALU_CYCLE_1) | instskip(NEXT) | instid1(SALU_CYCLE_1)
	s_bitset1_b32 s0, 10
	s_mov_b32 m0, s0
	s_sendmsg sendmsg(MSG_INTERRUPT)
	s_mov_b32 m0, ttmp2
.LBB2_1067:                             ; =>This Inner Loop Header: Depth=1
	s_sethalt 5
	s_branch .LBB2_1067
.LBB2_1068:
	s_trap 2
	s_sendmsg_rtn_b32 s0, sendmsg(MSG_RTN_GET_DOORBELL)
	s_mov_b32 ttmp2, m0
	s_waitcnt lgkmcnt(0)
	s_and_b32 s0, s0, 0x3ff
	s_delay_alu instid0(SALU_CYCLE_1) | instskip(NEXT) | instid1(SALU_CYCLE_1)
	s_bitset1_b32 s0, 10
	s_mov_b32 m0, s0
	s_sendmsg sendmsg(MSG_INTERRUPT)
	s_mov_b32 m0, ttmp2
.LBB2_1069:                             ; =>This Inner Loop Header: Depth=1
	s_sethalt 5
	s_branch .LBB2_1069
.LBB2_1070:
	s_trap 2
	s_sendmsg_rtn_b32 s0, sendmsg(MSG_RTN_GET_DOORBELL)
	s_mov_b32 ttmp2, m0
	s_waitcnt lgkmcnt(0)
	s_and_b32 s0, s0, 0x3ff
	s_delay_alu instid0(SALU_CYCLE_1) | instskip(NEXT) | instid1(SALU_CYCLE_1)
	s_bitset1_b32 s0, 10
	s_mov_b32 m0, s0
	s_sendmsg sendmsg(MSG_INTERRUPT)
	s_mov_b32 m0, ttmp2
.LBB2_1071:                             ; =>This Inner Loop Header: Depth=1
	s_sethalt 5
	s_branch .LBB2_1071
.LBB2_1072:
	s_trap 2
	s_sendmsg_rtn_b32 s0, sendmsg(MSG_RTN_GET_DOORBELL)
	s_mov_b32 ttmp2, m0
	s_waitcnt lgkmcnt(0)
	s_and_b32 s0, s0, 0x3ff
	s_delay_alu instid0(SALU_CYCLE_1) | instskip(NEXT) | instid1(SALU_CYCLE_1)
	s_bitset1_b32 s0, 10
	s_mov_b32 m0, s0
	s_sendmsg sendmsg(MSG_INTERRUPT)
	s_mov_b32 m0, ttmp2
.LBB2_1073:                             ; =>This Inner Loop Header: Depth=1
	s_sethalt 5
	s_branch .LBB2_1073
.LBB2_1074:
	s_trap 2
	s_sendmsg_rtn_b32 s0, sendmsg(MSG_RTN_GET_DOORBELL)
	s_mov_b32 ttmp2, m0
	s_waitcnt lgkmcnt(0)
	s_and_b32 s0, s0, 0x3ff
	s_delay_alu instid0(SALU_CYCLE_1) | instskip(NEXT) | instid1(SALU_CYCLE_1)
	s_bitset1_b32 s0, 10
	s_mov_b32 m0, s0
	s_sendmsg sendmsg(MSG_INTERRUPT)
	s_mov_b32 m0, ttmp2
.LBB2_1075:                             ; =>This Inner Loop Header: Depth=1
	s_sethalt 5
	s_branch .LBB2_1075
.LBB2_1076:
	s_trap 2
	s_sendmsg_rtn_b32 s0, sendmsg(MSG_RTN_GET_DOORBELL)
	s_mov_b32 ttmp2, m0
	s_waitcnt lgkmcnt(0)
	s_and_b32 s0, s0, 0x3ff
	s_delay_alu instid0(SALU_CYCLE_1) | instskip(NEXT) | instid1(SALU_CYCLE_1)
	s_bitset1_b32 s0, 10
	s_mov_b32 m0, s0
	s_sendmsg sendmsg(MSG_INTERRUPT)
	s_mov_b32 m0, ttmp2
.LBB2_1077:                             ; =>This Inner Loop Header: Depth=1
	s_sethalt 5
	s_branch .LBB2_1077
.LBB2_1078:
	s_trap 2
	s_sendmsg_rtn_b32 s0, sendmsg(MSG_RTN_GET_DOORBELL)
	s_mov_b32 ttmp2, m0
	s_waitcnt lgkmcnt(0)
	s_and_b32 s0, s0, 0x3ff
	s_delay_alu instid0(SALU_CYCLE_1) | instskip(NEXT) | instid1(SALU_CYCLE_1)
	s_bitset1_b32 s0, 10
	s_mov_b32 m0, s0
	s_sendmsg sendmsg(MSG_INTERRUPT)
	s_mov_b32 m0, ttmp2
.LBB2_1079:                             ; =>This Inner Loop Header: Depth=1
	s_sethalt 5
	s_branch .LBB2_1079
.LBB2_1080:
	s_trap 2
	s_sendmsg_rtn_b32 s0, sendmsg(MSG_RTN_GET_DOORBELL)
	s_mov_b32 ttmp2, m0
	s_waitcnt lgkmcnt(0)
	s_and_b32 s0, s0, 0x3ff
	s_delay_alu instid0(SALU_CYCLE_1) | instskip(NEXT) | instid1(SALU_CYCLE_1)
	s_bitset1_b32 s0, 10
	s_mov_b32 m0, s0
	s_sendmsg sendmsg(MSG_INTERRUPT)
	s_mov_b32 m0, ttmp2
.LBB2_1081:                             ; =>This Inner Loop Header: Depth=1
	s_sethalt 5
	s_branch .LBB2_1081
.LBB2_1082:
	s_trap 2
	s_sendmsg_rtn_b32 s0, sendmsg(MSG_RTN_GET_DOORBELL)
	s_mov_b32 ttmp2, m0
	s_waitcnt lgkmcnt(0)
	s_and_b32 s0, s0, 0x3ff
	s_delay_alu instid0(SALU_CYCLE_1) | instskip(NEXT) | instid1(SALU_CYCLE_1)
	s_bitset1_b32 s0, 10
	s_mov_b32 m0, s0
	s_sendmsg sendmsg(MSG_INTERRUPT)
	s_mov_b32 m0, ttmp2
.LBB2_1083:                             ; =>This Inner Loop Header: Depth=1
	s_sethalt 5
	s_branch .LBB2_1083
.LBB2_1084:
	s_trap 2
	s_sendmsg_rtn_b32 s0, sendmsg(MSG_RTN_GET_DOORBELL)
	s_mov_b32 ttmp2, m0
	s_waitcnt lgkmcnt(0)
	s_and_b32 s0, s0, 0x3ff
	s_delay_alu instid0(SALU_CYCLE_1) | instskip(NEXT) | instid1(SALU_CYCLE_1)
	s_bitset1_b32 s0, 10
	s_mov_b32 m0, s0
	s_sendmsg sendmsg(MSG_INTERRUPT)
	s_mov_b32 m0, ttmp2
.LBB2_1085:                             ; =>This Inner Loop Header: Depth=1
	s_sethalt 5
	s_branch .LBB2_1085
.LBB2_1086:
	s_trap 2
	s_sendmsg_rtn_b32 s0, sendmsg(MSG_RTN_GET_DOORBELL)
	s_mov_b32 ttmp2, m0
	s_waitcnt lgkmcnt(0)
	s_and_b32 s0, s0, 0x3ff
	s_delay_alu instid0(SALU_CYCLE_1) | instskip(NEXT) | instid1(SALU_CYCLE_1)
	s_bitset1_b32 s0, 10
	s_mov_b32 m0, s0
	s_sendmsg sendmsg(MSG_INTERRUPT)
	s_mov_b32 m0, ttmp2
.LBB2_1087:                             ; =>This Inner Loop Header: Depth=1
	s_sethalt 5
	s_branch .LBB2_1087
.LBB2_1088:
	s_trap 2
	s_sendmsg_rtn_b32 s0, sendmsg(MSG_RTN_GET_DOORBELL)
	s_mov_b32 ttmp2, m0
	s_waitcnt lgkmcnt(0)
	s_and_b32 s0, s0, 0x3ff
	s_delay_alu instid0(SALU_CYCLE_1) | instskip(NEXT) | instid1(SALU_CYCLE_1)
	s_bitset1_b32 s0, 10
	s_mov_b32 m0, s0
	s_sendmsg sendmsg(MSG_INTERRUPT)
	s_mov_b32 m0, ttmp2
.LBB2_1089:                             ; =>This Inner Loop Header: Depth=1
	s_sethalt 5
	s_branch .LBB2_1089
.LBB2_1090:
	s_trap 2
	s_sendmsg_rtn_b32 s0, sendmsg(MSG_RTN_GET_DOORBELL)
	s_mov_b32 ttmp2, m0
	s_waitcnt lgkmcnt(0)
	s_and_b32 s0, s0, 0x3ff
	s_delay_alu instid0(SALU_CYCLE_1) | instskip(NEXT) | instid1(SALU_CYCLE_1)
	s_bitset1_b32 s0, 10
	s_mov_b32 m0, s0
	s_sendmsg sendmsg(MSG_INTERRUPT)
	s_mov_b32 m0, ttmp2
.LBB2_1091:                             ; =>This Inner Loop Header: Depth=1
	s_sethalt 5
	s_branch .LBB2_1091
.LBB2_1092:
	s_trap 2
	s_sendmsg_rtn_b32 s0, sendmsg(MSG_RTN_GET_DOORBELL)
	s_mov_b32 ttmp2, m0
	s_waitcnt lgkmcnt(0)
	s_and_b32 s0, s0, 0x3ff
	s_delay_alu instid0(SALU_CYCLE_1) | instskip(NEXT) | instid1(SALU_CYCLE_1)
	s_bitset1_b32 s0, 10
	s_mov_b32 m0, s0
	s_sendmsg sendmsg(MSG_INTERRUPT)
	s_mov_b32 m0, ttmp2
.LBB2_1093:                             ; =>This Inner Loop Header: Depth=1
	s_sethalt 5
	s_branch .LBB2_1093
.LBB2_1094:
	s_or_b32 exec_lo, exec_lo, s4
	s_and_saveexec_b32 s4, s5
	s_delay_alu instid0(SALU_CYCLE_1)
	s_xor_b32 s4, exec_lo, s4
	s_cbranch_execz .LBB2_1096
; %bb.1095:
	v_mov_b32_e32 v0, 1
	ds_store_b32 v0, v0
	s_cbranch_execnz .LBB2_1103
.LBB2_1096:
	s_or_b32 exec_lo, exec_lo, s3
	;;#ASMSTART
	s_wakeup
	;;#ASMEND
.LBB2_1097:
	s_or_b32 exec_lo, exec_lo, s2
.LBB2_1098:
	s_and_not1_saveexec_b32 s1, s1
	s_cbranch_execz .LBB2_1100
; %bb.1099:
	s_waitcnt vmcnt(0) lgkmcnt(0)
	s_waitcnt_vscnt null, 0x0
	buffer_gl1_inv
	buffer_gl0_inv
	s_barrier
.LBB2_1100:
	s_or_b32 exec_lo, exec_lo, s0
	s_waitcnt vmcnt(0) lgkmcnt(0)
	s_setpc_b64 s[30:31]
.LBB2_1101:
	s_trap 2
	s_sendmsg_rtn_b32 s0, sendmsg(MSG_RTN_GET_DOORBELL)
	s_mov_b32 ttmp2, m0
	s_waitcnt lgkmcnt(0)
	s_and_b32 s0, s0, 0x3ff
	s_delay_alu instid0(SALU_CYCLE_1) | instskip(NEXT) | instid1(SALU_CYCLE_1)
	s_bitset1_b32 s0, 10
	s_mov_b32 m0, s0
	s_sendmsg sendmsg(MSG_INTERRUPT)
	s_mov_b32 m0, ttmp2
.LBB2_1102:                             ; =>This Inner Loop Header: Depth=1
	s_sethalt 5
	s_branch .LBB2_1102
.LBB2_1103:
	s_trap 2
	s_sendmsg_rtn_b32 s0, sendmsg(MSG_RTN_GET_DOORBELL)
	s_mov_b32 ttmp2, m0
	s_waitcnt lgkmcnt(0)
	s_and_b32 s0, s0, 0x3ff
	s_delay_alu instid0(SALU_CYCLE_1) | instskip(NEXT) | instid1(SALU_CYCLE_1)
	s_bitset1_b32 s0, 10
	s_mov_b32 m0, s0
	s_sendmsg sendmsg(MSG_INTERRUPT)
	s_mov_b32 m0, ttmp2
.LBB2_1104:                             ; =>This Inner Loop Header: Depth=1
	s_sethalt 5
	s_branch .LBB2_1104
.LBB2_1105:
	s_trap 2
	s_sendmsg_rtn_b32 s0, sendmsg(MSG_RTN_GET_DOORBELL)
	s_mov_b32 ttmp2, m0
	s_waitcnt lgkmcnt(0)
	s_and_b32 s0, s0, 0x3ff
	s_delay_alu instid0(SALU_CYCLE_1) | instskip(NEXT) | instid1(SALU_CYCLE_1)
	s_bitset1_b32 s0, 10
	s_mov_b32 m0, s0
	s_sendmsg sendmsg(MSG_INTERRUPT)
	s_mov_b32 m0, ttmp2
.LBB2_1106:                             ; =>This Inner Loop Header: Depth=1
	s_sethalt 5
	s_branch .LBB2_1106
.LBB2_1107:
	s_trap 2
	s_sendmsg_rtn_b32 s0, sendmsg(MSG_RTN_GET_DOORBELL)
	s_mov_b32 ttmp2, m0
	s_waitcnt lgkmcnt(0)
	s_and_b32 s0, s0, 0x3ff
	s_delay_alu instid0(SALU_CYCLE_1) | instskip(NEXT) | instid1(SALU_CYCLE_1)
	s_bitset1_b32 s0, 10
	s_mov_b32 m0, s0
	s_sendmsg sendmsg(MSG_INTERRUPT)
	s_mov_b32 m0, ttmp2
.LBB2_1108:                             ; =>This Inner Loop Header: Depth=1
	s_sethalt 5
	s_branch .LBB2_1108
.LBB2_1109:
	s_trap 2
	s_sendmsg_rtn_b32 s0, sendmsg(MSG_RTN_GET_DOORBELL)
	s_mov_b32 ttmp2, m0
	s_waitcnt lgkmcnt(0)
	s_and_b32 s0, s0, 0x3ff
	s_delay_alu instid0(SALU_CYCLE_1) | instskip(NEXT) | instid1(SALU_CYCLE_1)
	s_bitset1_b32 s0, 10
	s_mov_b32 m0, s0
	s_sendmsg sendmsg(MSG_INTERRUPT)
	s_mov_b32 m0, ttmp2
.LBB2_1110:                             ; =>This Inner Loop Header: Depth=1
	s_sethalt 5
	s_branch .LBB2_1110
.Lfunc_end2:
	.size	_ZN12_GLOBAL__N_17runRingI11rccl_float813FuncPreMulSumIS1_E7ProtoLLLi0ELi2ELi0EEEviiP15ncclDevWorkColl, .Lfunc_end2-_ZN12_GLOBAL__N_17runRingI11rccl_float813FuncPreMulSumIS1_E7ProtoLLLi0ELi2ELi0EEEviiP15ncclDevWorkColl
                                        ; -- End function
	.section	.AMDGPU.csdata,"",@progbits
; Function info:
; codeLenInByte = 43064
; NumSgprs: 34
; NumVgprs: 168
; ScratchSize: 0
; MemoryBound: 0
	.text
	.p2align	2                               ; -- Begin function _Z56ncclDevFunc_ReduceScatter_RING_LL_PreMulSum_f8e4m3_0_0_2v
	.type	_Z56ncclDevFunc_ReduceScatter_RING_LL_PreMulSum_f8e4m3_0_0_2v,@function
_Z56ncclDevFunc_ReduceScatter_RING_LL_PreMulSum_f8e4m3_0_0_2v: ; @_Z56ncclDevFunc_ReduceScatter_RING_LL_PreMulSum_f8e4m3_0_0_2v
; %bb.0:
	s_waitcnt vmcnt(0) expcnt(0) lgkmcnt(0)
	s_mov_b32 s0, s33
	s_mov_b32 s33, s32
	s_or_saveexec_b32 s1, -1
	scratch_store_b32 off, v40, s33         ; 4-byte Folded Spill
	s_mov_b32 exec_lo, s1
	v_writelane_b32 v40, s0, 5
	s_add_i32 s32, s32, 16
	v_writelane_b32 v40, s34, 0
	v_writelane_b32 v40, s35, 1
	;; [unrolled: 1-line block ×5, first 2 shown]
	s_cbranch_execnz .LBB3_7
; %bb.1:
	ds_load_b32 v0, v0
	v_and_b32_e32 v176, 0x3ff, v31
	s_mov_b32 s0, exec_lo
	s_waitcnt lgkmcnt(0)
	s_delay_alu instid0(VALU_DEP_1)
	v_cmpx_lt_i32_e64 v176, v0
	s_cbranch_execz .LBB3_9
; %bb.2:
	s_load_b32 s1, s[8:9], 0x0
	v_mov_b32_e32 v1, 0
	s_waitcnt lgkmcnt(0)
	s_cmp_lt_u32 s12, s1
	s_cselect_b32 s1, 12, 18
	s_delay_alu instid0(SALU_CYCLE_1)
	s_add_u32 s2, s8, s1
	s_addc_u32 s3, s9, 0
	s_mov_b32 s1, 0
	global_load_u16 v1, v1, s[2:3]
	s_cbranch_execnz .LBB3_24
; %bb.3:
	ds_load_b32 v2, v0
	v_mov_b32_e32 v3, v176
	s_mov_b32 s2, 0
                                        ; implicit-def: $vgpr4
	s_waitcnt vmcnt(0) lgkmcnt(0)
	v_mul_lo_u32 v2, v2, v1
	s_branch .LBB3_5
	.p2align	6
.LBB3_4:                                ;   in Loop: Header=BB3_5 Depth=1
	s_or_b32 exec_lo, exec_lo, s3
	v_add_nc_u32_e32 v3, v3, v1
	v_add_nc_u32_e32 v4, v4, v2
	s_delay_alu instid0(VALU_DEP_2) | instskip(SKIP_1) | instid1(SALU_CYCLE_1)
	v_cmp_ge_i32_e32 vcc_lo, v3, v0
	s_or_b32 s1, vcc_lo, s1
	s_and_not1_b32 exec_lo, exec_lo, s1
	s_cbranch_execz .LBB3_9
.LBB3_5:                                ; =>This Inner Loop Header: Depth=1
	ds_load_b32 v5, v4
	s_mov_b32 s3, exec_lo
	s_waitcnt lgkmcnt(0)
	v_and_b32_e32 v5, 0x1000000, v5
	s_delay_alu instid0(VALU_DEP_1)
	v_cmpx_ne_u32_e32 0, v5
	s_cbranch_execz .LBB3_4
; %bb.6:                                ;   in Loop: Header=BB3_5 Depth=1
	ds_load_b64 v[5:6], v4 offset:104
	s_waitcnt lgkmcnt(0)
	flat_load_u8 v5, v[5:6]
	s_waitcnt vmcnt(0) lgkmcnt(0)
	v_dual_mov_b32 v6, s2 :: v_dual_and_b32 v5, 0xffff, v5
	ds_store_b64 v4, v[5:6] offset:104
	s_branch .LBB3_4
.LBB3_7:
	s_trap 2
	s_sendmsg_rtn_b32 s0, sendmsg(MSG_RTN_GET_DOORBELL)
	s_mov_b32 ttmp2, m0
	s_waitcnt lgkmcnt(0)
	s_and_b32 s0, s0, 0x3ff
	s_delay_alu instid0(SALU_CYCLE_1) | instskip(NEXT) | instid1(SALU_CYCLE_1)
	s_bitset1_b32 s0, 10
	s_mov_b32 m0, s0
	s_sendmsg sendmsg(MSG_INTERRUPT)
	s_mov_b32 m0, ttmp2
.LBB3_8:                                ; =>This Inner Loop Header: Depth=1
	s_sethalt 5
	s_branch .LBB3_8
.LBB3_9:
	s_or_b32 exec_lo, exec_lo, s0
	s_waitcnt lgkmcnt(0)
	s_waitcnt_vscnt null, 0x0
	s_barrier
	buffer_gl0_inv
	s_cbranch_execnz .LBB3_22
; %bb.10:
	ds_load_b32 v0, v0
	s_waitcnt lgkmcnt(0)
	v_cmp_gt_i32_e32 vcc_lo, 1, v0
	s_cbranch_vccnz .LBB3_21
; %bb.11:
	s_mov_b32 s36, 0
	s_mov_b64 s[34:35], src_shared_base
.LBB3_12:                               ; =>This Inner Loop Header: Depth=1
	s_cbranch_execnz .LBB3_26
; %bb.13:                               ;   in Loop: Header=BB3_12 Depth=1
	ds_load_b32 v0, v0
	s_cmp_eq_u32 s36, 0
	s_cbranch_scc1 .LBB3_17
; %bb.14:                               ;   in Loop: Header=BB3_12 Depth=1
	s_cbranch_execnz .LBB3_30
; %bb.15:                               ;   in Loop: Header=BB3_12 Depth=1
	s_waitcnt lgkmcnt(0)
	ds_load_b32 v1, v0
	s_waitcnt lgkmcnt(0)
	v_xor_b32_e32 v1, v1, v0
	s_delay_alu instid0(VALU_DEP_1) | instskip(NEXT) | instid1(VALU_DEP_1)
	v_and_b32_e32 v1, 0xff0000, v1
	v_cmp_eq_u32_e32 vcc_lo, 0, v1
	s_cbranch_vccnz .LBB3_17
; %bb.16:                               ;   in Loop: Header=BB3_12 Depth=1
	s_waitcnt_vscnt null, 0x0
	s_barrier
	buffer_gl0_inv
	ds_load_b32 v0, v0
.LBB3_17:                               ;   in Loop: Header=BB3_12 Depth=1
	s_waitcnt lgkmcnt(0)
	v_lshrrev_b32_e32 v0, 11, v0
	s_mov_b32 s34, exec_lo
	s_delay_alu instid0(VALU_DEP_1) | instskip(NEXT) | instid1(VALU_DEP_1)
	v_and_b32_e32 v1, 0x1fe0, v0
	v_cmpx_lt_u32_e64 v176, v1
	s_cbranch_execz .LBB3_19
; %bb.18:                               ;   in Loop: Header=BB3_12 Depth=1
	v_dual_mov_b32 v0, v176 :: v_dual_mov_b32 v3, s35
	s_getpc_b64 s[0:1]
	s_add_u32 s0, s0, _ZN12_GLOBAL__N_17runRingI11rccl_float813FuncPreMulSumIS1_E7ProtoLLLi0ELi2ELi0EEEviiP15ncclDevWorkColl@rel32@lo+4
	s_addc_u32 s1, s1, _ZN12_GLOBAL__N_17runRingI11rccl_float813FuncPreMulSumIS1_E7ProtoLLLi0ELi2ELi0EEEviiP15ncclDevWorkColl@rel32@hi+12
	s_mov_b64 s[28:29], s[8:9]
	s_mov_b32 s27, s12
	s_swappc_b64 s[30:31], s[0:1]
	s_mov_b32 s12, s27
	s_mov_b64 s[8:9], s[28:29]
.LBB3_19:                               ;   in Loop: Header=BB3_12 Depth=1
	s_or_b32 exec_lo, exec_lo, s34
	s_cbranch_execnz .LBB3_28
; %bb.20:                               ;   in Loop: Header=BB3_12 Depth=1
	ds_load_b32 v0, v0
	s_add_i32 s36, s36, 1
	s_waitcnt lgkmcnt(0)
	v_cmp_lt_i32_e32 vcc_lo, s36, v0
	s_cbranch_vccnz .LBB3_12
.LBB3_21:
	v_readlane_b32 s30, v40, 3
	v_readlane_b32 s31, v40, 4
	;; [unrolled: 1-line block ×6, first 2 shown]
	s_or_saveexec_b32 s1, -1
	scratch_load_b32 v40, off, s33          ; 4-byte Folded Reload
	s_mov_b32 exec_lo, s1
	s_add_i32 s32, s32, -16
	s_mov_b32 s33, s0
	s_waitcnt vmcnt(0)
	s_setpc_b64 s[30:31]
.LBB3_22:
	s_trap 2
	s_sendmsg_rtn_b32 s0, sendmsg(MSG_RTN_GET_DOORBELL)
	s_mov_b32 ttmp2, m0
	s_waitcnt lgkmcnt(0)
	s_and_b32 s0, s0, 0x3ff
	s_delay_alu instid0(SALU_CYCLE_1) | instskip(NEXT) | instid1(SALU_CYCLE_1)
	s_bitset1_b32 s0, 10
	s_mov_b32 m0, s0
	s_sendmsg sendmsg(MSG_INTERRUPT)
	s_mov_b32 m0, ttmp2
.LBB3_23:                               ; =>This Inner Loop Header: Depth=1
	s_sethalt 5
	s_branch .LBB3_23
.LBB3_24:
	s_trap 2
	s_sendmsg_rtn_b32 s0, sendmsg(MSG_RTN_GET_DOORBELL)
	s_mov_b32 ttmp2, m0
	s_waitcnt lgkmcnt(0)
	s_and_b32 s0, s0, 0x3ff
	s_delay_alu instid0(SALU_CYCLE_1) | instskip(NEXT) | instid1(SALU_CYCLE_1)
	s_bitset1_b32 s0, 10
	s_mov_b32 m0, s0
	s_sendmsg sendmsg(MSG_INTERRUPT)
	s_mov_b32 m0, ttmp2
.LBB3_25:                               ; =>This Inner Loop Header: Depth=1
	s_sethalt 5
	s_branch .LBB3_25
.LBB3_26:
	s_trap 2
	s_sendmsg_rtn_b32 s0, sendmsg(MSG_RTN_GET_DOORBELL)
	s_mov_b32 ttmp2, m0
	s_waitcnt lgkmcnt(0)
	s_and_b32 s0, s0, 0x3ff
	s_delay_alu instid0(SALU_CYCLE_1) | instskip(NEXT) | instid1(SALU_CYCLE_1)
	s_bitset1_b32 s0, 10
	s_mov_b32 m0, s0
	s_sendmsg sendmsg(MSG_INTERRUPT)
	s_mov_b32 m0, ttmp2
.LBB3_27:                               ; =>This Inner Loop Header: Depth=1
	s_sethalt 5
	s_branch .LBB3_27
.LBB3_28:
	s_trap 2
	s_sendmsg_rtn_b32 s0, sendmsg(MSG_RTN_GET_DOORBELL)
	s_mov_b32 ttmp2, m0
	s_waitcnt lgkmcnt(0)
	s_and_b32 s0, s0, 0x3ff
	s_delay_alu instid0(SALU_CYCLE_1) | instskip(NEXT) | instid1(SALU_CYCLE_1)
	s_bitset1_b32 s0, 10
	s_mov_b32 m0, s0
	s_sendmsg sendmsg(MSG_INTERRUPT)
	s_mov_b32 m0, ttmp2
.LBB3_29:                               ; =>This Inner Loop Header: Depth=1
	s_sethalt 5
	s_branch .LBB3_29
.LBB3_30:
	s_trap 2
	s_sendmsg_rtn_b32 s0, sendmsg(MSG_RTN_GET_DOORBELL)
	s_mov_b32 ttmp2, m0
	s_waitcnt lgkmcnt(0)
	s_and_b32 s0, s0, 0x3ff
	s_delay_alu instid0(SALU_CYCLE_1) | instskip(NEXT) | instid1(SALU_CYCLE_1)
	s_bitset1_b32 s0, 10
	s_mov_b32 m0, s0
	s_sendmsg sendmsg(MSG_INTERRUPT)
	s_mov_b32 m0, ttmp2
.LBB3_31:                               ; =>This Inner Loop Header: Depth=1
	s_sethalt 5
	s_branch .LBB3_31
.Lfunc_end3:
	.size	_Z56ncclDevFunc_ReduceScatter_RING_LL_PreMulSum_f8e4m3_0_0_2v, .Lfunc_end3-_Z56ncclDevFunc_ReduceScatter_RING_LL_PreMulSum_f8e4m3_0_0_2v
                                        ; -- End function
	.section	.AMDGPU.csdata,"",@progbits
; Function info:
; codeLenInByte = 976
; NumSgprs: 39
; NumVgprs: 177
; ScratchSize: 16
; MemoryBound: 0
	.text
	.p2align	2                               ; -- Begin function _ZN12_GLOBAL__N_17runRingI11rccl_float813FuncPreMulSumIS1_E7ProtoLLLi0ELi4ELi0EEEviiP15ncclDevWorkColl
	.type	_ZN12_GLOBAL__N_17runRingI11rccl_float813FuncPreMulSumIS1_E7ProtoLLLi0ELi4ELi0EEEviiP15ncclDevWorkColl,@function
_ZN12_GLOBAL__N_17runRingI11rccl_float813FuncPreMulSumIS1_E7ProtoLLLi0ELi4ELi0EEEviiP15ncclDevWorkColl: ; @_ZN12_GLOBAL__N_17runRingI11rccl_float813FuncPreMulSumIS1_E7ProtoLLLi0ELi4ELi0EEEviiP15ncclDevWorkColl
; %bb.0:
	s_waitcnt vmcnt(0) expcnt(0) lgkmcnt(0)
	s_cbranch_execnz .LBB4_19
; %bb.1:
	v_mov_b32_e32 v4, v0
	s_clause 0x2
	flat_load_b32 v0, v[2:3]
	flat_load_b128 v[5:8], v[2:3] offset:72
	flat_load_b64 v[17:18], v[2:3] offset:88
	s_mov_b32 s0, exec_lo
                                        ; implicit-def: $vgpr25_vgpr26
	s_waitcnt vmcnt(2) lgkmcnt(2)
	v_and_b32_e32 v11, 0xff, v0
	v_bfe_u32 v10, v0, 8, 8
	s_delay_alu instid0(VALU_DEP_2) | instskip(SKIP_3) | instid1(VALU_DEP_1)
	v_not_b32_e32 v0, v11
	ds_load_b32 v9, v0
	ds_load_b64 v[23:24], v0
	v_add_nc_u32_e32 v12, v10, v0
	v_ashrrev_i32_e32 v13, 31, v12
	s_waitcnt vmcnt(1) lgkmcnt(3)
	v_mul_lo_u32 v14, v8, v12
	v_mad_u64_u32 v[19:20], null, v7, v12, 0
	s_delay_alu instid0(VALU_DEP_3) | instskip(NEXT) | instid1(VALU_DEP_1)
	v_mul_lo_u32 v12, v7, v13
	v_add3_u32 v54, v20, v12, v14
	s_waitcnt lgkmcnt(1)
	v_readfirstlane_b32 s10, v9
                                        ; implicit-def: $vgpr20_vgpr21
	v_cmpx_ne_u32_e64 v11, v9
	s_xor_b32 s0, exec_lo, s0
	s_cbranch_execz .LBB4_7
; %bb.2:
	s_mov_b32 s1, exec_lo
                                        ; implicit-def: $vgpr20_vgpr21
                                        ; implicit-def: $vgpr25_vgpr26
	v_cmpx_ne_u32_e64 v10, v9
	s_xor_b32 s1, exec_lo, s1
	s_cbranch_execz .LBB4_4
; %bb.3:
	flat_load_b64 v[10:11], v[2:3] offset:96
	v_add_nc_u32_e32 v0, v9, v0
	s_delay_alu instid0(VALU_DEP_1) | instskip(SKIP_2) | instid1(VALU_DEP_3)
	v_ashrrev_i32_e32 v9, 31, v0
	v_mul_lo_u32 v12, v8, v0
	v_mad_u64_u32 v[25:26], null, v7, v0, v[5:6]
	v_mul_lo_u32 v9, v7, v9
	s_delay_alu instid0(VALU_DEP_1)
	v_add3_u32 v26, v12, v26, v9
	s_waitcnt vmcnt(0) lgkmcnt(0)
	v_lshrrev_b64 v[20:21], 17, v[10:11]
.LBB4_4:
	s_and_not1_saveexec_b32 s1, s1
	s_cbranch_execz .LBB4_6
; %bb.5:
	flat_load_b32 v0, v[2:3] offset:100
	v_add_co_u32 v25, vcc_lo, v19, v5
	v_add_co_ci_u32_e32 v26, vcc_lo, v54, v6, vcc_lo
	s_waitcnt vmcnt(1)
	v_dual_mov_b32 v7, v17 :: v_dual_mov_b32 v8, v18
	s_waitcnt vmcnt(0) lgkmcnt(0)
	v_lshrrev_b32_e32 v20, 6, v0
.LBB4_6:
	s_or_b32 exec_lo, exec_lo, s1
.LBB4_7:
	s_and_not1_saveexec_b32 s0, s0
	s_cbranch_execz .LBB4_9
; %bb.8:
	flat_load_b64 v[7:8], v[2:3] offset:96
	v_mov_b32_e32 v25, 0
	v_mov_b32_e32 v26, 0
	s_waitcnt vmcnt(0) lgkmcnt(0)
	v_lshlrev_b64 v[20:21], 4, v[7:8]
	v_dual_mov_b32 v8, v6 :: v_dual_mov_b32 v7, v5
.LBB4_9:
	s_or_b32 exec_lo, exec_lo, s0
	s_clause 0x3
	flat_load_b64 v[15:16], v[2:3] offset:104
	flat_load_b128 v[9:12], v[2:3] offset:16
	flat_load_u16 v14, v[2:3] offset:8
	flat_load_b32 v13, v[2:3] offset:4
	s_mov_b32 s0, 0
	s_mov_b32 s2, exec_lo
                                        ; implicit-def: $sgpr1
	s_waitcnt vmcnt(3) lgkmcnt(3)
	v_and_b32_e32 v2, 0xff, v15
	s_delay_alu instid0(VALU_DEP_1)
	v_cmpx_lt_i16_e32 0x7f, v2
	s_xor_b32 s2, exec_lo, s2
	s_cbranch_execnz .LBB4_21
; %bb.10:
	s_or_saveexec_b32 s2, s2
	v_mov_b32_e32 v0, s1
	s_xor_b32 exec_lo, exec_lo, s2
	s_cbranch_execnz .LBB4_24
.LBB4_11:
	s_or_b32 exec_lo, exec_lo, s2
	s_and_saveexec_b32 s1, s0
	s_cbranch_execz .LBB4_13
.LBB4_12:
	v_and_b32_e32 v0, 7, v15
	v_bfe_u32 v16, v15, 3, 4
	s_delay_alu instid0(VALU_DEP_2) | instskip(NEXT) | instid1(VALU_DEP_2)
	v_clz_i32_u32_e32 v2, v0
	v_cmp_eq_u32_e32 vcc_lo, 0, v16
	s_delay_alu instid0(VALU_DEP_2) | instskip(NEXT) | instid1(VALU_DEP_1)
	v_min_u32_e32 v2, 32, v2
	v_subrev_nc_u32_e32 v3, 28, v2
	v_sub_nc_u32_e32 v2, 29, v2
	s_delay_alu instid0(VALU_DEP_1) | instskip(SKIP_1) | instid1(VALU_DEP_2)
	v_dual_cndmask_b32 v2, v16, v2 :: v_dual_lshlrev_b32 v3, v3, v15
	v_lshlrev_b32_e32 v15, 24, v15
	v_and_b32_e32 v3, 7, v3
	s_delay_alu instid0(VALU_DEP_3) | instskip(NEXT) | instid1(VALU_DEP_2)
	v_lshl_add_u32 v2, v2, 23, 0x3b800000
	v_cndmask_b32_e32 v0, v0, v3, vcc_lo
	s_delay_alu instid0(VALU_DEP_4) | instskip(NEXT) | instid1(VALU_DEP_2)
	v_and_b32_e32 v3, 0x80000000, v15
	v_lshlrev_b32_e32 v0, 20, v0
	s_delay_alu instid0(VALU_DEP_1)
	v_or3_b32 v0, v3, v2, v0
.LBB4_13:
	s_or_b32 exec_lo, exec_lo, s1
	s_load_b32 s0, s[8:9], 0x0
	v_mov_b32_e32 v2, 0
	s_mov_b32 s2, 0
	s_waitcnt lgkmcnt(0)
	s_cmp_lt_u32 s12, s0
	s_cselect_b32 s0, 12, 18
	s_delay_alu instid0(SALU_CYCLE_1)
	s_add_u32 s0, s8, s0
	s_addc_u32 s1, s9, 0
	global_load_u16 v55, v2, s[0:1]
	s_cbranch_execnz .LBB4_25
; %bb.14:
	ds_load_b32 v2, v0
	s_waitcnt vmcnt(1)
	v_lshrrev_b64 v[13:14], 31, v[13:14]
	s_delay_alu instid0(VALU_DEP_1)
	v_and_b32_e32 v14, 3, v13
	v_and_b32_e32 v13, 31, v4
	s_waitcnt lgkmcnt(0)
	v_cmp_gt_i32_e32 vcc_lo, 0, v2
	v_readfirstlane_b32 s1, v2
	s_cbranch_vccnz .LBB4_27
; %bb.15:
	v_cmp_eq_u32_e32 vcc_lo, 0, v13
	s_cbranch_execnz .LBB4_31
; %bb.16:
	ds_load_b64 v[15:16], v0
	v_mov_b32_e32 v3, 0
	v_and_b32_e32 v21, 0xffff, v14
	s_mov_b32 s2, 1
	s_delay_alu instid0(VALU_DEP_2) | instskip(SKIP_1) | instid1(VALU_DEP_1)
	v_lshlrev_b64 v[2:3], 3, v[2:3]
	s_waitcnt lgkmcnt(0)
	v_add_co_u32 v2, s0, v15, v2
	s_delay_alu instid0(VALU_DEP_1)
	v_add_co_ci_u32_e64 v3, s0, v16, v3, s0
	flat_load_b64 v[2:3], v[2:3]
	s_waitcnt vmcnt(0) lgkmcnt(0)
	v_mad_u64_u32 v[15:16], null, 0xa8, v21, v[2:3]
	s_clause 0x1
	flat_load_b64 v[29:30], v[15:16] offset:504
	flat_load_b64 v[32:33], v[15:16] offset:608
	v_add_co_u32 v2, s0, 0x1f8, v15
	s_delay_alu instid0(VALU_DEP_1) | instskip(NEXT) | instid1(VALU_DEP_1)
	v_add_co_ci_u32_e64 v3, s0, 0, v16, s0
	v_dual_cndmask_b32 v27, 0, v2 :: v_dual_cndmask_b32 v28, 0, v3
	s_cbranch_execz .LBB4_28
.LBB4_17:
	s_trap 2
	s_sendmsg_rtn_b32 s0, sendmsg(MSG_RTN_GET_DOORBELL)
	s_mov_b32 ttmp2, m0
	s_waitcnt lgkmcnt(0)
	s_and_b32 s0, s0, 0x3ff
	s_delay_alu instid0(SALU_CYCLE_1) | instskip(NEXT) | instid1(SALU_CYCLE_1)
	s_bitset1_b32 s0, 10
	s_mov_b32 m0, s0
	s_sendmsg sendmsg(MSG_INTERRUPT)
	s_mov_b32 m0, ttmp2
.LBB4_18:                               ; =>This Inner Loop Header: Depth=1
	s_sethalt 5
	s_branch .LBB4_18
.LBB4_19:
	s_trap 2
	s_sendmsg_rtn_b32 s0, sendmsg(MSG_RTN_GET_DOORBELL)
	s_mov_b32 ttmp2, m0
	s_waitcnt lgkmcnt(0)
	s_and_b32 s0, s0, 0x3ff
	s_delay_alu instid0(SALU_CYCLE_1) | instskip(NEXT) | instid1(SALU_CYCLE_1)
	s_bitset1_b32 s0, 10
	s_mov_b32 m0, s0
	s_sendmsg sendmsg(MSG_INTERRUPT)
	s_mov_b32 m0, ttmp2
.LBB4_20:                               ; =>This Inner Loop Header: Depth=1
	s_sethalt 5
	s_branch .LBB4_20
.LBB4_21:
	s_mov_b32 s0, -1
	s_mov_b32 s3, exec_lo
                                        ; implicit-def: $sgpr1
	v_cmpx_eq_u16_e32 0x80, v2
; %bb.22:
	s_mov_b32 s1, 0x7f800001
	s_xor_b32 s0, exec_lo, -1
; %bb.23:
	s_or_b32 exec_lo, exec_lo, s3
	s_delay_alu instid0(SALU_CYCLE_1)
	s_and_b32 s0, s0, exec_lo
                                        ; implicit-def: $vgpr2
	s_or_saveexec_b32 s2, s2
	v_mov_b32_e32 v0, s1
	s_xor_b32 exec_lo, exec_lo, s2
	s_cbranch_execz .LBB4_11
.LBB4_24:
	v_cmp_ne_u16_e32 vcc_lo, 0, v2
	v_mov_b32_e32 v0, 0
	s_and_not1_b32 s0, s0, exec_lo
	s_and_b32 s1, vcc_lo, exec_lo
	s_delay_alu instid0(SALU_CYCLE_1)
	s_or_b32 s0, s0, s1
	s_or_b32 exec_lo, exec_lo, s2
	s_and_saveexec_b32 s1, s0
	s_cbranch_execnz .LBB4_12
	s_branch .LBB4_13
.LBB4_25:
	s_trap 2
	s_sendmsg_rtn_b32 s0, sendmsg(MSG_RTN_GET_DOORBELL)
	s_mov_b32 ttmp2, m0
	s_waitcnt lgkmcnt(0)
	s_and_b32 s0, s0, 0x3ff
	s_delay_alu instid0(SALU_CYCLE_1) | instskip(NEXT) | instid1(SALU_CYCLE_1)
	s_bitset1_b32 s0, 10
	s_mov_b32 m0, s0
	s_sendmsg sendmsg(MSG_INTERRUPT)
	s_mov_b32 m0, ttmp2
.LBB4_26:                               ; =>This Inner Loop Header: Depth=1
	s_sethalt 5
	s_branch .LBB4_26
.LBB4_27:
	v_mov_b32_e32 v27, 0
	v_mov_b32_e32 v28, 0
                                        ; implicit-def: $vgpr32_vgpr33
                                        ; implicit-def: $vgpr29_vgpr30
	s_cbranch_execnz .LBB4_17
.LBB4_28:
	ds_load_b32 v2, v0
	v_mov_b32_e32 v36, 0
	v_mov_b32_e32 v37, 0
	s_waitcnt lgkmcnt(0)
	v_cmp_gt_i32_e32 vcc_lo, 0, v2
	s_cbranch_vccnz .LBB4_33
; %bb.29:
	s_cbranch_execnz .LBB4_1029
; %bb.30:
	ds_load_b64 v[15:16], v0
	v_mov_b32_e32 v3, 0
	s_delay_alu instid0(VALU_DEP_1) | instskip(SKIP_1) | instid1(VALU_DEP_1)
	v_lshlrev_b64 v[2:3], 3, v[2:3]
	s_waitcnt lgkmcnt(0)
	v_add_co_u32 v2, vcc_lo, v15, v2
	s_delay_alu instid0(VALU_DEP_2)
	v_add_co_ci_u32_e32 v3, vcc_lo, v16, v3, vcc_lo
	v_and_b32_e32 v16, 0xffff, v14
	v_cmp_eq_u32_e32 vcc_lo, 0, v13
	flat_load_b64 v[2:3], v[2:3]
	s_waitcnt vmcnt(0) lgkmcnt(0)
	v_mad_u64_u32 v[14:15], null, 0xa8, v16, v[2:3]
	s_clause 0x1
	flat_load_b64 v[38:39], v[14:15]
	flat_load_b64 v[21:22], v[14:15] offset:104
	v_dual_cndmask_b32 v35, 0, v15 :: v_dual_cndmask_b32 v34, 0, v14
	s_branch .LBB4_34
.LBB4_31:
	s_trap 2
	s_sendmsg_rtn_b32 s0, sendmsg(MSG_RTN_GET_DOORBELL)
	s_mov_b32 ttmp2, m0
	s_waitcnt lgkmcnt(0)
	s_and_b32 s0, s0, 0x3ff
	s_delay_alu instid0(SALU_CYCLE_1) | instskip(NEXT) | instid1(SALU_CYCLE_1)
	s_bitset1_b32 s0, 10
	s_mov_b32 m0, s0
	s_sendmsg sendmsg(MSG_INTERRUPT)
	s_mov_b32 m0, ttmp2
.LBB4_32:                               ; =>This Inner Loop Header: Depth=1
	s_sethalt 5
	s_branch .LBB4_32
.LBB4_33:
	s_delay_alu instid0(VALU_DEP_2)
	v_dual_mov_b32 v34, v36 :: v_dual_mov_b32 v35, v37
                                        ; implicit-def: $vgpr21_vgpr22
                                        ; implicit-def: $vgpr38_vgpr39
.LBB4_34:
	v_subrev_nc_u32_e32 v2, 32, v1
	v_cmp_gt_u32_e64 s0, s2, v13
                                        ; implicit-def: $vgpr48_vgpr49
	s_delay_alu instid0(VALU_DEP_2) | instskip(NEXT) | instid1(VALU_DEP_2)
	v_cmp_le_i32_e32 vcc_lo, v2, v4
	s_and_b32 s12, vcc_lo, s0
	s_delay_alu instid0(SALU_CYCLE_1)
	s_and_saveexec_b32 s0, s12
; %bb.35:
	s_clause 0x1
	flat_load_b64 v[36:37], v[27:28] offset:56
	flat_load_b64 v[48:49], v[27:28] offset:104
; %bb.36:
	s_or_b32 exec_lo, exec_lo, s0
	v_mov_b32_e32 v2, 0
	v_mov_b32_e32 v3, 0
	v_cmp_gt_i32_e64 s0, s2, v4
                                        ; implicit-def: $vgpr52_vgpr53
	s_delay_alu instid0(VALU_DEP_2) | instskip(SKIP_1) | instid1(VALU_DEP_3)
	v_dual_mov_b32 v14, v3 :: v_dual_mov_b32 v13, v2
	v_dual_mov_b32 v51, v3 :: v_dual_mov_b32 v50, v2
	s_and_saveexec_b32 s2, s0
	s_cbranch_execz .LBB4_38
; %bb.37:
	flat_load_b64 v[50:51], v[34:35] offset:56
	s_waitcnt vmcnt(0) lgkmcnt(0)
	flat_load_b64 v[52:53], v[50:51] glc dlc
	s_waitcnt vmcnt(0)
	flat_load_b128 v[13:16], v[34:35] offset:96
.LBB4_38:
	s_or_b32 exec_lo, exec_lo, s2
	s_waitcnt vmcnt(0)
	v_and_b32_e32 v98, 0xffff, v55
	s_mov_b32 s13, exec_lo
	v_cmpx_ne_u64_e32 0, v[7:8]
	s_cbranch_execz .LBB4_1017
; %bb.39:
	v_add_co_u32 v2, vcc_lo, v17, v5
	s_ashr_i32 s2, s1, 31
	v_add_co_ci_u32_e32 v3, vcc_lo, v18, v6, vcc_lo
	s_lshr_b32 s2, s2, 29
	s_ashr_i32 s11, s10, 31
	v_add_co_u32 v99, vcc_lo, v2, v19
	s_add_i32 s1, s1, s2
	s_lshl_b64 s[2:3], s[10:11], 2
	v_add_co_ci_u32_e32 v100, vcc_lo, v3, v54, vcc_lo
	v_add_co_u32 v3, vcc_lo, v23, s2
	v_dual_mov_b32 v55, 0 :: v_dual_and_b32 v64, 0x1fffff0, v20
	v_add_co_ci_u32_e32 v5, vcc_lo, s3, v24, vcc_lo
	v_ashrrev_i32_e32 v2, 31, v1
	s_delay_alu instid0(VALU_DEP_4) | instskip(NEXT) | instid1(VALU_DEP_4)
	v_add_co_u32 v66, vcc_lo, v3, -4
	v_dual_mov_b32 v65, v55 :: v_dual_lshlrev_b32 v102, 3, v4
	s_delay_alu instid0(VALU_DEP_4) | instskip(SKIP_2) | instid1(VALU_DEP_4)
	v_add_co_ci_u32_e32 v67, vcc_lo, -1, v5, vcc_lo
	v_dual_mov_b32 v130, 1 :: v_dual_and_b32 v5, 31, v31
	v_lshrrev_b32_e32 v6, 27, v2
	v_ashrrev_i32_e32 v113, 31, v102
	v_add_co_u32 v115, vcc_lo, v11, v102
	s_delay_alu instid0(VALU_DEP_4) | instskip(SKIP_4) | instid1(VALU_DEP_4)
	v_cmp_eq_u32_e64 s5, 0, v5
	v_ashrrev_i32_e32 v5, 31, v4
	v_add_nc_u32_e32 v3, v1, v6
	v_add_co_ci_u32_e32 v116, vcc_lo, v12, v113, vcc_lo
	v_add_co_u32 v117, vcc_lo, v9, v102
	v_lshlrev_b64 v[17:18], 4, v[4:5]
	v_add_co_ci_u32_e32 v118, vcc_lo, v10, v113, vcc_lo
	v_mov_b32_e32 v9, 0
	v_mov_b32_e32 v10, 0
	v_ashrrev_i32_e32 v101, 5, v3
	v_lshlrev_b32_e32 v103, 3, v1
	v_add_co_u32 v5, vcc_lo, v115, v25
	v_add_co_ci_u32_e32 v6, vcc_lo, v116, v26, vcc_lo
	s_ashr_i32 s4, s1, 3
	s_waitcnt lgkmcnt(1)
	v_add_co_u32 v128, vcc_lo, v38, v17
	s_ashr_i32 s14, s1, 7
	v_cmp_ne_u64_e64 s1, 0, v[50:51]
	s_waitcnt lgkmcnt(0)
	v_cmp_ne_u64_e64 s2, 0, v[13:14]
	v_cmp_ne_u64_e64 s6, 0, v[36:37]
	v_lshlrev_b64 v[68:69], 4, v[1:2]
	v_mov_b32_e32 v2, v9
	s_and_b32 s11, s4, -16
	v_cmp_ne_u32_e64 s3, 32, v1
	v_cmp_ne_u32_e64 s4, v98, v1
	v_ashrrev_i32_e32 v112, 31, v101
	v_ashrrev_i32_e32 v114, 31, v103
	v_lshlrev_b32_e32 v119, 6, v1
	v_add_co_ci_u32_e32 v129, vcc_lo, v39, v18, vcc_lo
	v_mov_b32_e32 v131, 0
	v_mov_b32_e32 v3, v10
	s_cmp_gt_i32 s10, 2
	s_mov_b32 s15, 0
	s_cselect_b32 s16, -1, 0
.LBB4_40:                               ; =>This Loop Header: Depth=1
                                        ;     Child Loop BB4_47 Depth 2
                                        ;     Child Loop BB4_67 Depth 2
	;; [unrolled: 1-line block ×5, first 2 shown]
                                        ;       Child Loop BB4_228 Depth 3
                                        ;       Child Loop BB4_248 Depth 3
	;; [unrolled: 1-line block ×3, first 2 shown]
                                        ;         Child Loop BB4_274 Depth 4
                                        ;       Child Loop BB4_612 Depth 3
                                        ;       Child Loop BB4_629 Depth 3
                                        ;     Child Loop BB4_634 Depth 2
                                        ;       Child Loop BB4_642 Depth 3
                                        ;     Child Loop BB4_1000 Depth 2
	s_waitcnt vmcnt(0) lgkmcnt(0)
	flat_load_b32 v19, v[66:67]
	v_sub_co_u32 v17, vcc_lo, v7, v9
	v_sub_co_ci_u32_e32 v18, vcc_lo, v8, v10, vcc_lo
	s_delay_alu instid0(VALU_DEP_1) | instskip(SKIP_1) | instid1(VALU_DEP_1)
	v_cmp_lt_u64_e32 vcc_lo, v[64:65], v[17:18]
	v_cndmask_b32_e32 v20, v17, v64, vcc_lo
	v_lshl_add_u32 v17, v20, 1, 14
	s_delay_alu instid0(VALU_DEP_1)
	v_and_b32_e32 v133, 0x7fffff0, v17
	s_and_saveexec_b32 s7, s1
	s_cbranch_execz .LBB4_58
; %bb.41:                               ;   in Loop: Header=BB4_40 Depth=1
	v_add_co_u32 v17, vcc_lo, v15, 1
	v_add_co_ci_u32_e32 v18, vcc_lo, 0, v16, vcc_lo
	v_add_co_u32 v70, vcc_lo, v52, 8
	v_add_co_ci_u32_e32 v71, vcc_lo, 0, v53, vcc_lo
	s_mov_b32 s8, exec_lo
	s_delay_alu instid0(VALU_DEP_1)
	v_cmpx_lt_u64_e64 v[70:71], v[17:18]
	s_cbranch_execz .LBB4_55
; %bb.42:                               ;   in Loop: Header=BB4_40 Depth=1
	s_sleep 1
	flat_load_b64 v[52:53], v[50:51] glc
	v_cmp_eq_u32_e32 vcc_lo, 0, v131
	s_and_saveexec_b32 s9, vcc_lo
	s_cbranch_execz .LBB4_54
; %bb.43:                               ;   in Loop: Header=BB4_40 Depth=1
	v_cndmask_b32_e64 v16, 0, 1, vcc_lo
	s_mov_b32 s17, 0
                                        ; implicit-def: $sgpr18
	s_branch .LBB4_47
.LBB4_44:                               ;   in Loop: Header=BB4_47 Depth=2
	s_or_b32 exec_lo, exec_lo, s21
	s_delay_alu instid0(SALU_CYCLE_1)
	s_or_not1_b32 s21, s22, exec_lo
.LBB4_45:                               ;   in Loop: Header=BB4_47 Depth=2
	s_or_b32 exec_lo, exec_lo, s20
	s_xor_b32 s20, s21, -1
	s_and_not1_b32 s18, s18, exec_lo
	s_and_b32 s20, s20, exec_lo
	s_delay_alu instid0(SALU_CYCLE_1)
	s_or_b32 s18, s18, s20
.LBB4_46:                               ;   in Loop: Header=BB4_47 Depth=2
	s_or_b32 exec_lo, exec_lo, s19
	s_delay_alu instid0(SALU_CYCLE_1) | instskip(NEXT) | instid1(SALU_CYCLE_1)
	s_and_b32 s19, exec_lo, s18
	s_or_b32 s17, s19, s17
	s_delay_alu instid0(SALU_CYCLE_1)
	s_and_not1_b32 exec_lo, exec_lo, s17
	s_cbranch_execz .LBB4_53
.LBB4_47:                               ;   Parent Loop BB4_40 Depth=1
                                        ; =>  This Inner Loop Header: Depth=2
	s_waitcnt vmcnt(0) lgkmcnt(0)
	v_add_co_u32 v70, vcc_lo, v52, 8
	v_add_co_ci_u32_e32 v71, vcc_lo, 0, v53, vcc_lo
	v_mov_b32_e32 v131, 0
	s_or_b32 s18, s18, exec_lo
	s_mov_b32 s19, exec_lo
	s_delay_alu instid0(VALU_DEP_2)
	v_cmpx_lt_u64_e64 v[70:71], v[17:18]
	s_cbranch_execz .LBB4_46
; %bb.48:                               ;   in Loop: Header=BB4_47 Depth=2
	s_sleep 1
	flat_load_b64 v[52:53], v[50:51] glc
	v_dual_mov_b32 v131, 0 :: v_dual_add_nc_u32 v16, 1, v16
	s_mov_b32 s21, -1
	s_mov_b32 s20, exec_lo
	s_delay_alu instid0(VALU_DEP_1)
	v_cmpx_eq_u32_e32 0x2710, v16
	s_cbranch_execz .LBB4_45
; %bb.49:                               ;   in Loop: Header=BB4_47 Depth=2
	s_cbranch_execnz .LBB4_1035
; %bb.50:                               ;   in Loop: Header=BB4_47 Depth=2
	ds_load_b64 v[70:71], v0
	v_dual_mov_b32 v16, 0 :: v_dual_mov_b32 v131, 0
	s_mov_b32 s22, -1
	s_mov_b32 s21, exec_lo
	s_waitcnt vmcnt(0) lgkmcnt(0)
	s_waitcnt_vscnt null, 0x0
	flat_load_b32 v54, v[70:71] glc
	s_waitcnt vmcnt(0) lgkmcnt(0)
	buffer_gl1_inv
	buffer_gl0_inv
	v_cmpx_ne_u32_e32 0, v54
	s_cbranch_execz .LBB4_44
; %bb.51:                               ;   in Loop: Header=BB4_47 Depth=2
	ds_store_b32 v0, v54
	s_cbranch_execnz .LBB4_1060
; %bb.52:                               ;   in Loop: Header=BB4_47 Depth=2
	v_mov_b32_e32 v131, 1
	s_xor_b32 s22, exec_lo, -1
	s_branch .LBB4_44
.LBB4_53:                               ;   in Loop: Header=BB4_40 Depth=1
	s_or_b32 exec_lo, exec_lo, s17
.LBB4_54:                               ;   in Loop: Header=BB4_40 Depth=1
	s_delay_alu instid0(SALU_CYCLE_1)
	s_or_b32 exec_lo, exec_lo, s9
.LBB4_55:                               ;   in Loop: Header=BB4_40 Depth=1
	s_delay_alu instid0(SALU_CYCLE_1)
	s_or_b32 exec_lo, exec_lo, s8
	s_and_saveexec_b32 s8, s2
	s_cbranch_execz .LBB4_57
; %bb.56:                               ;   in Loop: Header=BB4_40 Depth=1
	v_and_b32_e32 v54, 0x7ffffff8, v15
	v_and_b32_e32 v16, 7, v15
	s_delay_alu instid0(VALU_DEP_2) | instskip(NEXT) | instid1(VALU_DEP_2)
	v_cmp_eq_u64_e32 vcc_lo, 0x7ffffff8, v[54:55]
	v_mad_u64_u32 v[70:71], null, v16, 24, v[13:14]
	v_cndmask_b32_e64 v15, v133, s11, vcc_lo
	s_delay_alu instid0(VALU_DEP_1)
	v_ashrrev_i32_e32 v16, 31, v15
	flat_store_b64 v[70:71], v[15:16] offset:8 dlc
	s_waitcnt_vscnt null, 0x0
.LBB4_57:                               ;   in Loop: Header=BB4_40 Depth=1
	s_or_b32 exec_lo, exec_lo, s8
	v_dual_mov_b32 v15, v17 :: v_dual_mov_b32 v16, v18
.LBB4_58:                               ;   in Loop: Header=BB4_40 Depth=1
	s_or_b32 exec_lo, exec_lo, s7
	s_and_saveexec_b32 s7, s3
	s_cbranch_execz .LBB4_80
; %bb.59:                               ;   in Loop: Header=BB4_40 Depth=1
	s_and_saveexec_b32 s8, s4
	s_delay_alu instid0(SALU_CYCLE_1)
	s_xor_b32 s8, exec_lo, s8
	s_cbranch_execz .LBB4_77
; %bb.60:                               ;   in Loop: Header=BB4_40 Depth=1
	s_and_saveexec_b32 s9, s5
	s_cbranch_execz .LBB4_76
; %bb.61:                               ;   in Loop: Header=BB4_40 Depth=1
	s_mov_b32 s18, exec_lo
	s_mov_b32 s17, exec_lo
	v_mbcnt_lo_u32_b32 v17, s18, 0
	s_waitcnt vmcnt(0) lgkmcnt(0)
	s_waitcnt_vscnt null, 0x0
	buffer_gl1_inv
	buffer_gl0_inv
	v_cmpx_eq_u32_e32 0, v17
	s_cbranch_execz .LBB4_63
; %bb.62:                               ;   in Loop: Header=BB4_40 Depth=1
	s_bcnt1_i32_b32 s18, s18
	s_delay_alu instid0(SALU_CYCLE_1)
	v_mov_b32_e32 v54, s18
	ds_add_u64 v0, v[54:55]
	s_cbranch_execnz .LBB4_1054
.LBB4_63:                               ;   in Loop: Header=BB4_40 Depth=1
	s_or_b32 exec_lo, exec_lo, s17
	s_cbranch_execnz .LBB4_1041
; %bb.64:                               ;   in Loop: Header=BB4_40 Depth=1
	ds_load_b64 v[17:18], v0
	v_add_co_u32 v2, vcc_lo, v2, v101
	v_add_co_ci_u32_e32 v3, vcc_lo, v3, v112, vcc_lo
	s_mov_b32 s17, exec_lo
	s_waitcnt lgkmcnt(0)
	s_delay_alu instid0(VALU_DEP_1)
	v_cmpx_lt_u64_e64 v[17:18], v[2:3]
	s_cbranch_execz .LBB4_75
; %bb.65:                               ;   in Loop: Header=BB4_40 Depth=1
	s_mov_b32 s18, 0
	s_mov_b32 s21, 0
                                        ; implicit-def: $sgpr19
                                        ; implicit-def: $sgpr20
	s_branch .LBB4_67
.LBB4_66:                               ;   in Loop: Header=BB4_67 Depth=2
	s_or_b32 exec_lo, exec_lo, s24
	s_delay_alu instid0(SALU_CYCLE_1) | instskip(NEXT) | instid1(SALU_CYCLE_1)
	s_and_b32 s22, exec_lo, s23
	s_or_b32 s18, s22, s18
	s_and_not1_b32 s19, s19, exec_lo
	s_and_b32 s22, s20, exec_lo
	s_delay_alu instid0(SALU_CYCLE_1)
	s_or_b32 s19, s19, s22
	s_and_not1_b32 exec_lo, exec_lo, s18
	s_cbranch_execz .LBB4_73
.LBB4_67:                               ;   Parent Loop BB4_40 Depth=1
                                        ; =>  This Inner Loop Header: Depth=2
	s_add_i32 s21, s21, 1
                                        ; implicit-def: $sgpr23
	s_delay_alu instid0(SALU_CYCLE_1) | instskip(SKIP_1) | instid1(SALU_CYCLE_1)
	s_cmpk_lg_i32 s21, 0x2710
	s_cselect_b32 s22, -1, 0
	s_and_b32 vcc_lo, exec_lo, s22
	s_cbranch_vccz .LBB4_71
.LBB4_68:                               ;   in Loop: Header=BB4_67 Depth=2
	s_and_not1_b32 s20, s20, exec_lo
	s_and_b32 s24, s23, exec_lo
	s_mov_b32 s23, -1
	s_or_b32 s20, s20, s24
	s_and_saveexec_b32 s24, s22
	s_cbranch_execz .LBB4_66
; %bb.69:                               ;   in Loop: Header=BB4_67 Depth=2
	s_sleep 1
	s_cbranch_execnz .LBB4_1068
; %bb.70:                               ;   in Loop: Header=BB4_67 Depth=2
	ds_load_b64 v[17:18], v0
	s_and_not1_b32 s20, s20, exec_lo
	s_waitcnt lgkmcnt(0)
	v_cmp_ge_u64_e32 vcc_lo, v[17:18], v[2:3]
	s_or_not1_b32 s23, vcc_lo, exec_lo
	s_branch .LBB4_66
.LBB4_71:                               ;   in Loop: Header=BB4_67 Depth=2
	s_cbranch_execnz .LBB4_1076
; %bb.72:                               ;   in Loop: Header=BB4_67 Depth=2
	ds_load_b64 v[17:18], v0
	s_and_not1_b32 s22, s22, exec_lo
	s_mov_b32 s21, 0
	s_mov_b32 s23, -1
	s_waitcnt lgkmcnt(0)
	flat_load_b32 v17, v[17:18] glc
	s_waitcnt vmcnt(0) lgkmcnt(0)
	buffer_gl1_inv
	buffer_gl0_inv
	v_cmp_eq_u32_e32 vcc_lo, 0, v17
	s_and_b32 s24, vcc_lo, exec_lo
	s_delay_alu instid0(SALU_CYCLE_1)
	s_or_b32 s22, s22, s24
	s_branch .LBB4_68
.LBB4_73:                               ;   in Loop: Header=BB4_40 Depth=1
	s_or_b32 exec_lo, exec_lo, s18
	s_and_saveexec_b32 s18, s19
	s_delay_alu instid0(SALU_CYCLE_1)
	s_xor_b32 s18, exec_lo, s18
	s_cbranch_execz .LBB4_75
; %bb.74:                               ;   in Loop: Header=BB4_40 Depth=1
	ds_store_b32 v0, v130
	s_cbranch_execnz .LBB4_1101
.LBB4_75:                               ;   in Loop: Header=BB4_40 Depth=1
	s_or_b32 exec_lo, exec_lo, s17
	;;#ASMSTART
	s_wakeup
	;;#ASMEND
.LBB4_76:                               ;   in Loop: Header=BB4_40 Depth=1
	s_or_b32 exec_lo, exec_lo, s9
.LBB4_77:                               ;   in Loop: Header=BB4_40 Depth=1
	s_and_not1_saveexec_b32 s8, s8
	s_cbranch_execz .LBB4_79
; %bb.78:                               ;   in Loop: Header=BB4_40 Depth=1
	s_waitcnt vmcnt(0) lgkmcnt(0)
	s_waitcnt_vscnt null, 0x0
	buffer_gl1_inv
	buffer_gl0_inv
	s_barrier
.LBB4_79:                               ;   in Loop: Header=BB4_40 Depth=1
	s_or_b32 exec_lo, exec_lo, s8
.LBB4_80:                               ;   in Loop: Header=BB4_40 Depth=1
	s_delay_alu instid0(SALU_CYCLE_1) | instskip(SKIP_2) | instid1(VALU_DEP_2)
	s_or_b32 exec_lo, exec_lo, s7
	v_sub_nc_u32_e32 v132, v20, v102
	v_mov_b32_e32 v70, v4
	v_cmp_lt_i32_e64 s7, 0, v132
	s_delay_alu instid0(VALU_DEP_1)
	s_and_saveexec_b32 s9, s7
	s_cbranch_execz .LBB4_216
; %bb.81:                               ;   in Loop: Header=BB4_40 Depth=1
	v_dual_mov_b32 v70, v21 :: v_dual_and_b32 v17, 7, v21
	s_waitcnt vmcnt(0) lgkmcnt(0)
	v_ashrrev_i32_e32 v20, 31, v19
	v_mad_u64_u32 v[80:81], null, v99, v19, v[5:6]
	s_delay_alu instid0(VALU_DEP_3) | instskip(SKIP_1) | instid1(VALU_DEP_4)
	v_mul_lo_u32 v17, v17, s14
	v_mul_lo_u32 v82, v100, v19
	;; [unrolled: 1-line block ×4, first 2 shown]
	v_add_co_u32 v71, vcc_lo, 0, 0
	v_mov_b32_e32 v54, v132
	s_mov_b32 s17, 0
	v_ashrrev_i32_e32 v18, 31, v17
	v_add3_u32 v81, v82, v81, v84
	v_add_lshl_u32 v86, v5, v83, 3
	s_delay_alu instid0(VALU_DEP_3) | instskip(SKIP_2) | instid1(VALU_DEP_3)
	v_lshlrev_b64 v[19:20], 4, v[17:18]
	v_add_co_ci_u32_e32 v18, vcc_lo, 1, v70, vcc_lo
	v_mov_b32_e32 v70, v4
	v_add_co_u32 v82, vcc_lo, v128, v19
	s_delay_alu instid0(VALU_DEP_4)
	v_add_co_ci_u32_e32 v83, vcc_lo, v129, v20, vcc_lo
	s_branch .LBB4_85
.LBB4_82:                               ;   in Loop: Header=BB4_85 Depth=2
	s_or_b32 exec_lo, exec_lo, s8
	s_delay_alu instid0(VALU_DEP_1) | instskip(NEXT) | instid1(VALU_DEP_2)
	v_lshrrev_b32_e32 v135, 20, v135
	v_cmp_gt_i32_e32 vcc_lo, 16, v134
	v_min_i32_e32 v144, 15, v134
	v_lshrrev_b32_e32 v85, 24, v85
	s_delay_alu instid0(VALU_DEP_2) | instskip(NEXT) | instid1(VALU_DEP_2)
	v_dual_cndmask_b32 v135, 7, v135 :: v_dual_lshlrev_b32 v144, 3, v144
	v_and_b32_e32 v85, 0x80, v85
	s_delay_alu instid0(VALU_DEP_2) | instskip(NEXT) | instid1(VALU_DEP_3)
	v_or_b32_e32 v134, v134, v135
	v_and_b32_e32 v144, 0xf8, v144
	s_delay_alu instid0(VALU_DEP_2) | instskip(SKIP_1) | instid1(VALU_DEP_1)
	v_cmp_ne_u32_e32 vcc_lo, 0, v134
	v_and_b32_e32 v145, 7, v135
	v_or3_b32 v85, v85, v144, v145
	s_delay_alu instid0(VALU_DEP_1) | instskip(NEXT) | instid1(VALU_DEP_1)
	v_lshlrev_b32_e32 v85, 8, v85
	v_cndmask_b32_e32 v134, 0, v85, vcc_lo
.LBB4_83:                               ;   in Loop: Header=BB4_85 Depth=2
	s_or_b32 exec_lo, exec_lo, s19
.LBB4_84:                               ;   in Loop: Header=BB4_85 Depth=2
	s_delay_alu instid0(SALU_CYCLE_1)
	s_or_b32 exec_lo, exec_lo, s18
	v_and_b32_e32 v20, 0xff, v20
	v_lshlrev_b32_e32 v19, 8, v19
	v_or_b32_e32 v85, v134, v97
	v_or_b32_e32 v87, v96, v87
	v_sub_nc_u32_e32 v54, v54, v103
	v_lshlrev_b32_e32 v20, 16, v20
	v_add_co_u32 v80, vcc_lo, v80, v103
	v_add_co_ci_u32_e32 v81, vcc_lo, v81, v114, vcc_lo
	s_delay_alu instid0(VALU_DEP_3)
	v_lshl_or_b32 v84, v84, 24, v20
	v_mov_b32_e32 v20, v18
	v_perm_b32 v17, v19, v17, 0xc0c0500
	v_lshlrev_b32_e32 v19, 16, v85
	v_cmp_gt_i32_e32 vcc_lo, 1, v54
	v_add_nc_u32_e32 v70, v70, v1
	v_add_nc_u32_e32 v86, v86, v119
	v_or3_b32 v17, v84, v17, v71
	v_or3_b32 v19, v87, v19, v71
	s_or_b32 s17, vcc_lo, s17
	global_store_b128 v[82:83], v[17:20], off
	v_add_co_u32 v82, s8, v82, v68
	s_delay_alu instid0(VALU_DEP_1)
	v_add_co_ci_u32_e64 v83, s8, v83, v69, s8
	s_and_not1_b32 exec_lo, exec_lo, s17
	s_cbranch_execz .LBB4_215
.LBB4_85:                               ;   Parent Loop BB4_40 Depth=1
                                        ; =>  This Inner Loop Header: Depth=2
	v_dual_mov_b32 v20, v81 :: v_dual_and_b32 v19, -4, v80
	v_min_u32_e32 v84, 8, v54
	v_dual_mov_b32 v96, 0 :: v_dual_and_b32 v85, 3, v80
	v_mov_b32_e32 v87, 0
	flat_load_b32 v17, v[19:20] glc
	v_add_co_u32 v84, s8, v85, v84
	s_delay_alu instid0(VALU_DEP_1) | instskip(SKIP_1) | instid1(VALU_DEP_1)
	v_add_co_ci_u32_e64 v85, null, 0, 0, s8
	s_mov_b32 s8, exec_lo
	v_cmpx_lt_u64_e32 4, v[84:85]
	s_cbranch_execz .LBB4_87
; %bb.86:                               ;   in Loop: Header=BB4_85 Depth=2
	flat_load_b32 v96, v[19:20] offset:4 glc
.LBB4_87:                               ;   in Loop: Header=BB4_85 Depth=2
	s_or_b32 exec_lo, exec_lo, s8
	s_delay_alu instid0(SALU_CYCLE_1)
	s_mov_b32 s8, exec_lo
	v_cmpx_lt_u64_e32 8, v[84:85]
	s_cbranch_execz .LBB4_89
; %bb.88:                               ;   in Loop: Header=BB4_85 Depth=2
	flat_load_b32 v87, v[19:20] offset:8 glc
.LBB4_89:                               ;   in Loop: Header=BB4_85 Depth=2
	s_or_b32 exec_lo, exec_lo, s8
	s_waitcnt vmcnt(0) lgkmcnt(0)
	v_alignbit_b32 v84, v96, v17, v86
	s_mov_b32 s8, 0
	s_mov_b32 s19, exec_lo
                                        ; implicit-def: $sgpr18
	s_delay_alu instid0(VALU_DEP_1) | instskip(NEXT) | instid1(VALU_DEP_1)
	v_and_b32_e32 v19, 0xff, v84
	v_cmpx_lt_i16_e32 0x7f, v19
	s_xor_b32 s19, exec_lo, s19
	s_cbranch_execnz .LBB4_183
; %bb.90:                               ;   in Loop: Header=BB4_85 Depth=2
	s_or_saveexec_b32 s19, s19
	v_mov_b32_e32 v17, s18
	s_xor_b32 exec_lo, exec_lo, s19
	s_cbranch_execnz .LBB4_186
.LBB4_91:                               ;   in Loop: Header=BB4_85 Depth=2
	s_or_b32 exec_lo, exec_lo, s19
	s_and_saveexec_b32 s18, s8
	s_cbranch_execz .LBB4_93
.LBB4_92:                               ;   in Loop: Header=BB4_85 Depth=2
	v_and_b32_e32 v17, 7, v84
	v_bfe_u32 v85, v84, 3, 4
	v_lshlrev_b32_e32 v97, 24, v84
	s_delay_alu instid0(VALU_DEP_3) | instskip(NEXT) | instid1(VALU_DEP_3)
	v_clz_i32_u32_e32 v19, v17
	v_cmp_eq_u32_e32 vcc_lo, 0, v85
	s_delay_alu instid0(VALU_DEP_2) | instskip(NEXT) | instid1(VALU_DEP_1)
	v_min_u32_e32 v19, 32, v19
	v_subrev_nc_u32_e32 v20, 28, v19
	v_sub_nc_u32_e32 v19, 29, v19
	s_delay_alu instid0(VALU_DEP_1) | instskip(NEXT) | instid1(VALU_DEP_1)
	v_dual_cndmask_b32 v19, v85, v19 :: v_dual_lshlrev_b32 v20, v20, v84
	v_and_b32_e32 v20, 7, v20
	s_delay_alu instid0(VALU_DEP_2) | instskip(NEXT) | instid1(VALU_DEP_2)
	v_lshl_add_u32 v19, v19, 23, 0x3b800000
	v_dual_cndmask_b32 v17, v17, v20 :: v_dual_and_b32 v20, 0x80000000, v97
	s_delay_alu instid0(VALU_DEP_1) | instskip(NEXT) | instid1(VALU_DEP_1)
	v_lshlrev_b32_e32 v17, 20, v17
	v_or3_b32 v17, v20, v19, v17
.LBB4_93:                               ;   in Loop: Header=BB4_85 Depth=2
	s_or_b32 exec_lo, exec_lo, s18
	s_delay_alu instid0(VALU_DEP_1) | instskip(NEXT) | instid1(VALU_DEP_1)
	v_mul_f32_e32 v19, v0, v17
	v_and_b32_e32 v17, 0x7f800000, v19
	s_delay_alu instid0(VALU_DEP_1)
	v_cmp_ne_u32_e32 vcc_lo, 0x7f800000, v17
	v_mov_b32_e32 v17, 0x80
	s_and_saveexec_b32 s18, vcc_lo
	s_cbranch_execz .LBB4_101
; %bb.94:                               ;   in Loop: Header=BB4_85 Depth=2
	v_mov_b32_e32 v17, 0
	s_mov_b32 s19, exec_lo
	v_cmpx_ne_u32_e32 0, v19
	s_cbranch_execz .LBB4_100
; %bb.95:                               ;   in Loop: Header=BB4_85 Depth=2
	v_bfe_u32 v17, v19, 23, 8
	s_delay_alu instid0(VALU_DEP_1) | instskip(SKIP_1) | instid1(VALU_DEP_2)
	v_sub_nc_u32_e32 v85, 0x78, v17
	v_cmp_gt_u32_e32 vcc_lo, 0x79, v17
	v_dual_cndmask_b32 v85, 0, v85 :: v_dual_and_b32 v20, 0x7fffff, v19
	s_delay_alu instid0(VALU_DEP_1) | instskip(SKIP_2) | instid1(VALU_DEP_4)
	v_or_b32_e32 v97, 0x800000, v20
	v_cmp_eq_u32_e32 vcc_lo, 0, v17
	v_add_nc_u32_e32 v17, 0xffffff89, v17
	v_cndmask_b32_e64 v85, v85, 0x77, vcc_lo
	s_delay_alu instid0(VALU_DEP_4) | instskip(NEXT) | instid1(VALU_DEP_3)
	v_cndmask_b32_e32 v20, v97, v20, vcc_lo
	v_cndmask_b32_e64 v17, v17, 0xffffff8a, vcc_lo
	s_delay_alu instid0(VALU_DEP_3) | instskip(NEXT) | instid1(VALU_DEP_3)
	v_lshl_add_u32 v97, 0x100000, v85, -1
	v_lshrrev_b32_e32 v134, v85, v20
	v_lshlrev_b32_e64 v144, v85, 0x80000
	s_delay_alu instid0(VALU_DEP_4) | instskip(NEXT) | instid1(VALU_DEP_4)
	v_add_nc_u32_e32 v85, v85, v17
	v_and_b32_e32 v20, v97, v20
	s_delay_alu instid0(VALU_DEP_4) | instskip(NEXT) | instid1(VALU_DEP_2)
	v_bfe_u32 v135, v134, 20, 1
	v_cmp_eq_u32_e64 s8, v20, v144
	s_delay_alu instid0(VALU_DEP_2) | instskip(NEXT) | instid1(VALU_DEP_1)
	v_add_nc_u32_e32 v97, -1, v135
	v_cndmask_b32_e64 v20, 0, v97, s8
	v_lshrrev_b32_e32 v97, 23, v134
	s_mov_b32 s8, exec_lo
	s_delay_alu instid0(VALU_DEP_2) | instskip(NEXT) | instid1(VALU_DEP_2)
	v_add_nc_u32_e32 v20, v20, v134
	v_xor_b32_e32 v97, 1, v97
	s_delay_alu instid0(VALU_DEP_2) | instskip(NEXT) | instid1(VALU_DEP_1)
	v_and_b32_e32 v17, 0xfffff, v20
	v_add_nc_u32_e32 v20, v17, v134
                                        ; implicit-def: $vgpr17
	s_delay_alu instid0(VALU_DEP_3)
	v_cmpx_ne_u32_e64 v85, v97
	s_xor_b32 s8, exec_lo, s8
; %bb.96:                               ;   in Loop: Header=BB4_85 Depth=2
	s_delay_alu instid0(VALU_DEP_2) | instskip(SKIP_2) | instid1(VALU_DEP_2)
	v_cmp_lt_u32_e32 vcc_lo, 0xffffff, v20
	v_sub_nc_u32_e32 v17, v85, v97
	v_cndmask_b32_e64 v85, 0, 1, vcc_lo
	v_add_co_ci_u32_e32 v17, vcc_lo, 0, v17, vcc_lo
	s_delay_alu instid0(VALU_DEP_2)
	v_lshrrev_b32_e32 v20, v85, v20
; %bb.97:                               ;   in Loop: Header=BB4_85 Depth=2
	s_and_not1_saveexec_b32 s8, s8
; %bb.98:                               ;   in Loop: Header=BB4_85 Depth=2
	s_delay_alu instid0(VALU_DEP_1)
	v_bfe_u32 v17, v20, 23, 1
; %bb.99:                               ;   in Loop: Header=BB4_85 Depth=2
	s_or_b32 exec_lo, exec_lo, s8
	v_lshrrev_b32_e32 v20, 20, v20
	s_delay_alu instid0(VALU_DEP_2) | instskip(SKIP_2) | instid1(VALU_DEP_2)
	v_cmp_gt_i32_e32 vcc_lo, 16, v17
	v_lshrrev_b32_e32 v19, 24, v19
	v_min_i32_e32 v85, 15, v17
	v_dual_cndmask_b32 v20, 7, v20 :: v_dual_and_b32 v19, 0x80, v19
	s_delay_alu instid0(VALU_DEP_2) | instskip(NEXT) | instid1(VALU_DEP_2)
	v_lshlrev_b32_e32 v85, 3, v85
	v_and_b32_e32 v97, 7, v20
	v_or_b32_e32 v17, v17, v20
	s_delay_alu instid0(VALU_DEP_2) | instskip(NEXT) | instid1(VALU_DEP_2)
	v_or3_b32 v19, v85, v19, v97
	v_cmp_ne_u32_e32 vcc_lo, 0, v17
	s_delay_alu instid0(VALU_DEP_2)
	v_cndmask_b32_e32 v17, 0, v19, vcc_lo
.LBB4_100:                              ;   in Loop: Header=BB4_85 Depth=2
	s_or_b32 exec_lo, exec_lo, s19
.LBB4_101:                              ;   in Loop: Header=BB4_85 Depth=2
	s_delay_alu instid0(SALU_CYCLE_1) | instskip(SKIP_3) | instid1(VALU_DEP_1)
	s_or_b32 exec_lo, exec_lo, s18
	v_lshrrev_b16 v19, 8, v84
	s_mov_b32 s8, 0
	s_mov_b32 s19, exec_lo
                                        ; implicit-def: $sgpr18
	v_cmpx_lt_i16_e32 0x7f, v19
	s_xor_b32 s19, exec_lo, s19
	s_cbranch_execnz .LBB4_187
; %bb.102:                              ;   in Loop: Header=BB4_85 Depth=2
	s_or_saveexec_b32 s19, s19
	v_mov_b32_e32 v20, s18
	s_xor_b32 exec_lo, exec_lo, s19
	s_cbranch_execnz .LBB4_190
.LBB4_103:                              ;   in Loop: Header=BB4_85 Depth=2
	s_or_b32 exec_lo, exec_lo, s19
	s_and_saveexec_b32 s18, s8
	s_cbranch_execz .LBB4_105
.LBB4_104:                              ;   in Loop: Header=BB4_85 Depth=2
	v_and_b32_e32 v20, 0xffff, v19
	v_lshlrev_b32_e32 v19, 24, v19
	s_delay_alu instid0(VALU_DEP_2) | instskip(NEXT) | instid1(VALU_DEP_2)
	v_and_b32_e32 v85, 7, v20
	v_and_b32_e32 v19, 0x80000000, v19
	s_delay_alu instid0(VALU_DEP_2) | instskip(NEXT) | instid1(VALU_DEP_1)
	v_clz_i32_u32_e32 v97, v85
	v_min_u32_e32 v97, 32, v97
	s_delay_alu instid0(VALU_DEP_1) | instskip(SKIP_1) | instid1(VALU_DEP_2)
	v_subrev_nc_u32_e32 v134, 28, v97
	v_sub_nc_u32_e32 v97, 29, v97
	v_lshlrev_b32_e32 v134, v134, v20
	v_bfe_u32 v20, v20, 3, 4
	s_delay_alu instid0(VALU_DEP_2) | instskip(NEXT) | instid1(VALU_DEP_2)
	v_and_b32_e32 v134, 7, v134
	v_cmp_eq_u32_e32 vcc_lo, 0, v20
	s_delay_alu instid0(VALU_DEP_2) | instskip(NEXT) | instid1(VALU_DEP_1)
	v_dual_cndmask_b32 v20, v20, v97 :: v_dual_cndmask_b32 v85, v85, v134
	v_lshl_add_u32 v20, v20, 23, 0x3b800000
	s_delay_alu instid0(VALU_DEP_2) | instskip(NEXT) | instid1(VALU_DEP_1)
	v_lshlrev_b32_e32 v85, 20, v85
	v_or3_b32 v20, v19, v20, v85
.LBB4_105:                              ;   in Loop: Header=BB4_85 Depth=2
	s_or_b32 exec_lo, exec_lo, s18
	s_delay_alu instid0(VALU_DEP_1) | instskip(NEXT) | instid1(VALU_DEP_1)
	v_mul_f32_e32 v20, v0, v20
	v_and_b32_e32 v19, 0x7f800000, v20
	s_delay_alu instid0(VALU_DEP_1)
	v_cmp_ne_u32_e32 vcc_lo, 0x7f800000, v19
	v_mov_b32_e32 v19, 0x80
	s_and_saveexec_b32 s18, vcc_lo
	s_cbranch_execz .LBB4_113
; %bb.106:                              ;   in Loop: Header=BB4_85 Depth=2
	v_mov_b32_e32 v19, 0
	s_mov_b32 s19, exec_lo
	v_cmpx_ne_u32_e32 0, v20
	s_cbranch_execz .LBB4_112
; %bb.107:                              ;   in Loop: Header=BB4_85 Depth=2
	v_bfe_u32 v19, v20, 23, 8
	v_and_b32_e32 v85, 0x7fffff, v20
	s_delay_alu instid0(VALU_DEP_2) | instskip(SKIP_1) | instid1(VALU_DEP_3)
	v_sub_nc_u32_e32 v97, 0x78, v19
	v_cmp_gt_u32_e32 vcc_lo, 0x79, v19
	v_or_b32_e32 v134, 0x800000, v85
	s_delay_alu instid0(VALU_DEP_3) | instskip(SKIP_2) | instid1(VALU_DEP_3)
	v_cndmask_b32_e32 v97, 0, v97, vcc_lo
	v_cmp_eq_u32_e32 vcc_lo, 0, v19
	v_add_nc_u32_e32 v19, 0xffffff89, v19
	v_cndmask_b32_e64 v97, v97, 0x77, vcc_lo
	v_cndmask_b32_e32 v85, v134, v85, vcc_lo
	s_delay_alu instid0(VALU_DEP_3) | instskip(NEXT) | instid1(VALU_DEP_3)
	v_cndmask_b32_e64 v19, v19, 0xffffff8a, vcc_lo
	v_lshl_add_u32 v134, 0x100000, v97, -1
	s_delay_alu instid0(VALU_DEP_3) | instskip(SKIP_1) | instid1(VALU_DEP_4)
	v_lshrrev_b32_e32 v135, v97, v85
	v_lshlrev_b32_e64 v145, v97, 0x80000
	v_add_nc_u32_e32 v97, v97, v19
	s_delay_alu instid0(VALU_DEP_4) | instskip(NEXT) | instid1(VALU_DEP_4)
	v_and_b32_e32 v85, v134, v85
	v_bfe_u32 v144, v135, 20, 1
	s_delay_alu instid0(VALU_DEP_2) | instskip(NEXT) | instid1(VALU_DEP_2)
	v_cmp_eq_u32_e64 s8, v85, v145
	v_add_nc_u32_e32 v134, -1, v144
	s_delay_alu instid0(VALU_DEP_1) | instskip(SKIP_2) | instid1(VALU_DEP_2)
	v_cndmask_b32_e64 v85, 0, v134, s8
	v_lshrrev_b32_e32 v134, 23, v135
	s_mov_b32 s8, exec_lo
	v_add_nc_u32_e32 v85, v85, v135
	s_delay_alu instid0(VALU_DEP_2) | instskip(NEXT) | instid1(VALU_DEP_2)
	v_xor_b32_e32 v134, 1, v134
	v_and_b32_e32 v19, 0xfffff, v85
	s_delay_alu instid0(VALU_DEP_1) | instskip(NEXT) | instid1(VALU_DEP_3)
	v_add_nc_u32_e32 v85, v19, v135
                                        ; implicit-def: $vgpr19
	v_cmpx_ne_u32_e64 v97, v134
	s_xor_b32 s8, exec_lo, s8
; %bb.108:                              ;   in Loop: Header=BB4_85 Depth=2
	s_delay_alu instid0(VALU_DEP_2) | instskip(SKIP_2) | instid1(VALU_DEP_2)
	v_cmp_lt_u32_e32 vcc_lo, 0xffffff, v85
	v_sub_nc_u32_e32 v19, v97, v134
	v_cndmask_b32_e64 v97, 0, 1, vcc_lo
	v_add_co_ci_u32_e32 v19, vcc_lo, 0, v19, vcc_lo
	s_delay_alu instid0(VALU_DEP_2)
	v_lshrrev_b32_e32 v85, v97, v85
; %bb.109:                              ;   in Loop: Header=BB4_85 Depth=2
	s_and_not1_saveexec_b32 s8, s8
; %bb.110:                              ;   in Loop: Header=BB4_85 Depth=2
	s_delay_alu instid0(VALU_DEP_1)
	v_bfe_u32 v19, v85, 23, 1
; %bb.111:                              ;   in Loop: Header=BB4_85 Depth=2
	s_or_b32 exec_lo, exec_lo, s8
	v_lshrrev_b32_e32 v85, 20, v85
	s_delay_alu instid0(VALU_DEP_2) | instskip(SKIP_2) | instid1(VALU_DEP_2)
	v_cmp_gt_i32_e32 vcc_lo, 16, v19
	v_lshrrev_b32_e32 v20, 24, v20
	v_min_i32_e32 v97, 15, v19
	v_dual_cndmask_b32 v85, 7, v85 :: v_dual_and_b32 v20, 0x80, v20
	s_delay_alu instid0(VALU_DEP_2) | instskip(NEXT) | instid1(VALU_DEP_2)
	v_lshlrev_b32_e32 v97, 3, v97
	v_or_b32_e32 v19, v19, v85
	s_delay_alu instid0(VALU_DEP_1) | instskip(SKIP_1) | instid1(VALU_DEP_1)
	v_cmp_ne_u32_e32 vcc_lo, 0, v19
	v_and_b32_e32 v134, 7, v85
	v_or3_b32 v20, v97, v20, v134
	s_delay_alu instid0(VALU_DEP_1)
	v_cndmask_b32_e32 v19, 0, v20, vcc_lo
.LBB4_112:                              ;   in Loop: Header=BB4_85 Depth=2
	s_or_b32 exec_lo, exec_lo, s19
.LBB4_113:                              ;   in Loop: Header=BB4_85 Depth=2
	s_delay_alu instid0(SALU_CYCLE_1) | instskip(SKIP_3) | instid1(VALU_DEP_1)
	s_or_b32 exec_lo, exec_lo, s18
	v_lshrrev_b32_e32 v20, 16, v84
	s_mov_b32 s8, 0
	s_mov_b32 s19, exec_lo
                                        ; implicit-def: $sgpr18
	v_and_b32_e32 v97, 0xff, v20
	s_delay_alu instid0(VALU_DEP_1)
	v_cmpx_lt_i16_e32 0x7f, v97
	s_xor_b32 s19, exec_lo, s19
	s_cbranch_execnz .LBB4_191
; %bb.114:                              ;   in Loop: Header=BB4_85 Depth=2
	s_or_saveexec_b32 s19, s19
	v_mov_b32_e32 v85, s18
	s_xor_b32 exec_lo, exec_lo, s19
	s_cbranch_execnz .LBB4_194
.LBB4_115:                              ;   in Loop: Header=BB4_85 Depth=2
	s_or_b32 exec_lo, exec_lo, s19
	s_and_saveexec_b32 s18, s8
	s_cbranch_execz .LBB4_117
.LBB4_116:                              ;   in Loop: Header=BB4_85 Depth=2
	v_bfe_u32 v85, v84, 16, 3
	v_lshlrev_b32_e32 v135, 8, v84
	s_delay_alu instid0(VALU_DEP_2) | instskip(NEXT) | instid1(VALU_DEP_1)
	v_clz_i32_u32_e32 v97, v85
	v_min_u32_e32 v97, 32, v97
	s_delay_alu instid0(VALU_DEP_1) | instskip(SKIP_1) | instid1(VALU_DEP_2)
	v_subrev_nc_u32_e32 v134, 28, v97
	v_sub_nc_u32_e32 v97, 29, v97
	v_lshlrev_b32_e32 v20, v134, v20
	v_bfe_u32 v134, v84, 19, 4
	s_delay_alu instid0(VALU_DEP_1) | instskip(NEXT) | instid1(VALU_DEP_3)
	v_cmp_eq_u32_e32 vcc_lo, 0, v134
	v_dual_cndmask_b32 v97, v134, v97 :: v_dual_and_b32 v20, 7, v20
	s_delay_alu instid0(VALU_DEP_1) | instskip(NEXT) | instid1(VALU_DEP_2)
	v_dual_cndmask_b32 v20, v85, v20 :: v_dual_and_b32 v85, 0x80000000, v135
	v_lshl_add_u32 v97, v97, 23, 0x3b800000
	s_delay_alu instid0(VALU_DEP_2) | instskip(NEXT) | instid1(VALU_DEP_1)
	v_lshlrev_b32_e32 v20, 20, v20
	v_or3_b32 v85, v85, v97, v20
.LBB4_117:                              ;   in Loop: Header=BB4_85 Depth=2
	s_or_b32 exec_lo, exec_lo, s18
	s_delay_alu instid0(VALU_DEP_1) | instskip(NEXT) | instid1(VALU_DEP_1)
	v_mul_f32_e32 v85, v0, v85
	v_and_b32_e32 v20, 0x7f800000, v85
	s_delay_alu instid0(VALU_DEP_1)
	v_cmp_ne_u32_e32 vcc_lo, 0x7f800000, v20
	v_mov_b32_e32 v20, 0x80
	s_and_saveexec_b32 s18, vcc_lo
	s_cbranch_execz .LBB4_125
; %bb.118:                              ;   in Loop: Header=BB4_85 Depth=2
	v_mov_b32_e32 v20, 0
	s_mov_b32 s19, exec_lo
	v_cmpx_ne_u32_e32 0, v85
	s_cbranch_execz .LBB4_124
; %bb.119:                              ;   in Loop: Header=BB4_85 Depth=2
	v_bfe_u32 v20, v85, 23, 8
	s_delay_alu instid0(VALU_DEP_1) | instskip(SKIP_1) | instid1(VALU_DEP_2)
	v_sub_nc_u32_e32 v134, 0x78, v20
	v_cmp_gt_u32_e32 vcc_lo, 0x79, v20
	v_dual_cndmask_b32 v134, 0, v134 :: v_dual_and_b32 v97, 0x7fffff, v85
	s_delay_alu instid0(VALU_DEP_1) | instskip(SKIP_2) | instid1(VALU_DEP_4)
	v_or_b32_e32 v135, 0x800000, v97
	v_cmp_eq_u32_e32 vcc_lo, 0, v20
	v_add_nc_u32_e32 v20, 0xffffff89, v20
	v_cndmask_b32_e64 v134, v134, 0x77, vcc_lo
	s_delay_alu instid0(VALU_DEP_4) | instskip(NEXT) | instid1(VALU_DEP_3)
	v_cndmask_b32_e32 v97, v135, v97, vcc_lo
	v_cndmask_b32_e64 v20, v20, 0xffffff8a, vcc_lo
	s_delay_alu instid0(VALU_DEP_3) | instskip(NEXT) | instid1(VALU_DEP_3)
	v_lshl_add_u32 v135, 0x100000, v134, -1
	v_lshrrev_b32_e32 v144, v134, v97
	v_lshlrev_b32_e64 v146, v134, 0x80000
	s_delay_alu instid0(VALU_DEP_4) | instskip(NEXT) | instid1(VALU_DEP_4)
	v_add_nc_u32_e32 v134, v134, v20
	v_and_b32_e32 v97, v135, v97
	s_delay_alu instid0(VALU_DEP_4) | instskip(NEXT) | instid1(VALU_DEP_2)
	v_bfe_u32 v145, v144, 20, 1
	v_cmp_eq_u32_e64 s8, v97, v146
	s_delay_alu instid0(VALU_DEP_2) | instskip(NEXT) | instid1(VALU_DEP_1)
	v_add_nc_u32_e32 v135, -1, v145
	v_cndmask_b32_e64 v97, 0, v135, s8
	v_lshrrev_b32_e32 v135, 23, v144
	s_mov_b32 s8, exec_lo
	s_delay_alu instid0(VALU_DEP_2) | instskip(NEXT) | instid1(VALU_DEP_2)
	v_add_nc_u32_e32 v97, v97, v144
	v_xor_b32_e32 v135, 1, v135
	s_delay_alu instid0(VALU_DEP_2) | instskip(NEXT) | instid1(VALU_DEP_1)
	v_and_b32_e32 v20, 0xfffff, v97
	v_add_nc_u32_e32 v97, v20, v144
                                        ; implicit-def: $vgpr20
	s_delay_alu instid0(VALU_DEP_3)
	v_cmpx_ne_u32_e64 v134, v135
	s_xor_b32 s8, exec_lo, s8
; %bb.120:                              ;   in Loop: Header=BB4_85 Depth=2
	s_delay_alu instid0(VALU_DEP_2) | instskip(SKIP_2) | instid1(VALU_DEP_2)
	v_cmp_lt_u32_e32 vcc_lo, 0xffffff, v97
	v_sub_nc_u32_e32 v20, v134, v135
	v_cndmask_b32_e64 v134, 0, 1, vcc_lo
	v_add_co_ci_u32_e32 v20, vcc_lo, 0, v20, vcc_lo
	s_delay_alu instid0(VALU_DEP_2)
	v_lshrrev_b32_e32 v97, v134, v97
; %bb.121:                              ;   in Loop: Header=BB4_85 Depth=2
	s_and_not1_saveexec_b32 s8, s8
; %bb.122:                              ;   in Loop: Header=BB4_85 Depth=2
	s_delay_alu instid0(VALU_DEP_1)
	v_bfe_u32 v20, v97, 23, 1
; %bb.123:                              ;   in Loop: Header=BB4_85 Depth=2
	s_or_b32 exec_lo, exec_lo, s8
	v_lshrrev_b32_e32 v97, 20, v97
	s_delay_alu instid0(VALU_DEP_2) | instskip(SKIP_2) | instid1(VALU_DEP_4)
	v_cmp_gt_i32_e32 vcc_lo, 16, v20
	v_lshrrev_b32_e32 v85, 24, v85
	v_min_i32_e32 v134, 15, v20
	v_cndmask_b32_e32 v97, 7, v97, vcc_lo
	s_delay_alu instid0(VALU_DEP_3) | instskip(NEXT) | instid1(VALU_DEP_3)
	v_and_b32_e32 v85, 0x80, v85
	v_lshlrev_b32_e32 v134, 3, v134
	s_delay_alu instid0(VALU_DEP_3) | instskip(SKIP_1) | instid1(VALU_DEP_2)
	v_and_b32_e32 v135, 7, v97
	v_or_b32_e32 v20, v20, v97
	v_or3_b32 v85, v134, v85, v135
	s_delay_alu instid0(VALU_DEP_2) | instskip(NEXT) | instid1(VALU_DEP_2)
	v_cmp_ne_u32_e32 vcc_lo, 0, v20
	v_cndmask_b32_e32 v20, 0, v85, vcc_lo
.LBB4_124:                              ;   in Loop: Header=BB4_85 Depth=2
	s_or_b32 exec_lo, exec_lo, s19
.LBB4_125:                              ;   in Loop: Header=BB4_85 Depth=2
	s_delay_alu instid0(SALU_CYCLE_1) | instskip(SKIP_3) | instid1(VALU_DEP_1)
	s_or_b32 exec_lo, exec_lo, s18
	v_lshrrev_b32_e32 v85, 24, v84
	s_mov_b32 s8, 0
	s_mov_b32 s19, exec_lo
                                        ; implicit-def: $sgpr18
	v_cmpx_lt_i16_e32 0x7f, v85
	s_xor_b32 s19, exec_lo, s19
	s_cbranch_execnz .LBB4_195
; %bb.126:                              ;   in Loop: Header=BB4_85 Depth=2
	s_or_saveexec_b32 s19, s19
	v_mov_b32_e32 v97, s18
	s_xor_b32 exec_lo, exec_lo, s19
	s_cbranch_execnz .LBB4_198
.LBB4_127:                              ;   in Loop: Header=BB4_85 Depth=2
	s_or_b32 exec_lo, exec_lo, s19
	s_and_saveexec_b32 s18, s8
	s_cbranch_execz .LBB4_129
.LBB4_128:                              ;   in Loop: Header=BB4_85 Depth=2
	v_bfe_u32 v97, v84, 24, 3
	s_delay_alu instid0(VALU_DEP_1) | instskip(NEXT) | instid1(VALU_DEP_1)
	v_clz_i32_u32_e32 v134, v97
	v_min_u32_e32 v134, 32, v134
	s_delay_alu instid0(VALU_DEP_1) | instskip(SKIP_1) | instid1(VALU_DEP_2)
	v_subrev_nc_u32_e32 v135, 28, v134
	v_sub_nc_u32_e32 v134, 29, v134
	v_lshlrev_b32_e32 v85, v135, v85
	v_bfe_u32 v135, v84, 27, 4
	v_and_b32_e32 v84, 0x80000000, v84
	s_delay_alu instid0(VALU_DEP_2) | instskip(NEXT) | instid1(VALU_DEP_4)
	v_cmp_eq_u32_e32 vcc_lo, 0, v135
	v_dual_cndmask_b32 v134, v135, v134 :: v_dual_and_b32 v85, 7, v85
	s_delay_alu instid0(VALU_DEP_1) | instskip(NEXT) | instid1(VALU_DEP_2)
	v_cndmask_b32_e32 v85, v97, v85, vcc_lo
	v_lshl_add_u32 v97, v134, 23, 0x3b800000
	s_delay_alu instid0(VALU_DEP_2) | instskip(NEXT) | instid1(VALU_DEP_1)
	v_lshlrev_b32_e32 v85, 20, v85
	v_or3_b32 v97, v84, v97, v85
.LBB4_129:                              ;   in Loop: Header=BB4_85 Depth=2
	s_or_b32 exec_lo, exec_lo, s18
	s_delay_alu instid0(VALU_DEP_1) | instskip(NEXT) | instid1(VALU_DEP_1)
	v_mul_f32_e32 v85, v0, v97
	v_and_b32_e32 v84, 0x7f800000, v85
	s_delay_alu instid0(VALU_DEP_1)
	v_cmp_ne_u32_e32 vcc_lo, 0x7f800000, v84
	v_mov_b32_e32 v84, 0x80
	s_and_saveexec_b32 s18, vcc_lo
	s_cbranch_execz .LBB4_137
; %bb.130:                              ;   in Loop: Header=BB4_85 Depth=2
	v_mov_b32_e32 v84, 0
	s_mov_b32 s19, exec_lo
	v_cmpx_ne_u32_e32 0, v85
	s_cbranch_execz .LBB4_136
; %bb.131:                              ;   in Loop: Header=BB4_85 Depth=2
	v_bfe_u32 v84, v85, 23, 8
	s_delay_alu instid0(VALU_DEP_1) | instskip(SKIP_1) | instid1(VALU_DEP_2)
	v_sub_nc_u32_e32 v134, 0x78, v84
	v_cmp_gt_u32_e32 vcc_lo, 0x79, v84
	v_dual_cndmask_b32 v134, 0, v134 :: v_dual_and_b32 v97, 0x7fffff, v85
	s_delay_alu instid0(VALU_DEP_1) | instskip(SKIP_2) | instid1(VALU_DEP_4)
	v_or_b32_e32 v135, 0x800000, v97
	v_cmp_eq_u32_e32 vcc_lo, 0, v84
	v_add_nc_u32_e32 v84, 0xffffff89, v84
	v_cndmask_b32_e64 v134, v134, 0x77, vcc_lo
	s_delay_alu instid0(VALU_DEP_4) | instskip(NEXT) | instid1(VALU_DEP_3)
	v_cndmask_b32_e32 v97, v135, v97, vcc_lo
	v_cndmask_b32_e64 v84, v84, 0xffffff8a, vcc_lo
	s_delay_alu instid0(VALU_DEP_3) | instskip(NEXT) | instid1(VALU_DEP_3)
	v_lshl_add_u32 v135, 0x100000, v134, -1
	v_lshrrev_b32_e32 v144, v134, v97
	v_lshlrev_b32_e64 v146, v134, 0x80000
	s_delay_alu instid0(VALU_DEP_4) | instskip(NEXT) | instid1(VALU_DEP_4)
	v_add_nc_u32_e32 v134, v134, v84
	v_and_b32_e32 v97, v135, v97
	s_delay_alu instid0(VALU_DEP_4) | instskip(NEXT) | instid1(VALU_DEP_2)
	v_bfe_u32 v145, v144, 20, 1
	v_cmp_eq_u32_e64 s8, v97, v146
	s_delay_alu instid0(VALU_DEP_2) | instskip(NEXT) | instid1(VALU_DEP_1)
	v_add_nc_u32_e32 v135, -1, v145
	v_cndmask_b32_e64 v97, 0, v135, s8
	v_lshrrev_b32_e32 v135, 23, v144
	s_mov_b32 s8, exec_lo
	s_delay_alu instid0(VALU_DEP_2) | instskip(NEXT) | instid1(VALU_DEP_2)
	v_add_nc_u32_e32 v97, v97, v144
	v_xor_b32_e32 v135, 1, v135
	s_delay_alu instid0(VALU_DEP_2) | instskip(NEXT) | instid1(VALU_DEP_1)
	v_and_b32_e32 v84, 0xfffff, v97
	v_add_nc_u32_e32 v97, v84, v144
                                        ; implicit-def: $vgpr84
	s_delay_alu instid0(VALU_DEP_3)
	v_cmpx_ne_u32_e64 v134, v135
	s_xor_b32 s8, exec_lo, s8
; %bb.132:                              ;   in Loop: Header=BB4_85 Depth=2
	s_delay_alu instid0(VALU_DEP_2) | instskip(SKIP_2) | instid1(VALU_DEP_2)
	v_cmp_lt_u32_e32 vcc_lo, 0xffffff, v97
	v_sub_nc_u32_e32 v84, v134, v135
	v_cndmask_b32_e64 v134, 0, 1, vcc_lo
	v_add_co_ci_u32_e32 v84, vcc_lo, 0, v84, vcc_lo
	s_delay_alu instid0(VALU_DEP_2)
	v_lshrrev_b32_e32 v97, v134, v97
; %bb.133:                              ;   in Loop: Header=BB4_85 Depth=2
	s_and_not1_saveexec_b32 s8, s8
; %bb.134:                              ;   in Loop: Header=BB4_85 Depth=2
	s_delay_alu instid0(VALU_DEP_1)
	v_bfe_u32 v84, v97, 23, 1
; %bb.135:                              ;   in Loop: Header=BB4_85 Depth=2
	s_or_b32 exec_lo, exec_lo, s8
	v_lshrrev_b32_e32 v97, 20, v97
	s_delay_alu instid0(VALU_DEP_2) | instskip(SKIP_2) | instid1(VALU_DEP_4)
	v_cmp_gt_i32_e32 vcc_lo, 16, v84
	v_lshrrev_b32_e32 v85, 24, v85
	v_min_i32_e32 v134, 15, v84
	v_cndmask_b32_e32 v97, 7, v97, vcc_lo
	s_delay_alu instid0(VALU_DEP_3) | instskip(NEXT) | instid1(VALU_DEP_3)
	v_and_b32_e32 v85, 0x80, v85
	v_lshlrev_b32_e32 v134, 3, v134
	s_delay_alu instid0(VALU_DEP_3) | instskip(SKIP_1) | instid1(VALU_DEP_2)
	v_and_b32_e32 v135, 7, v97
	v_or_b32_e32 v84, v84, v97
	v_or3_b32 v85, v134, v85, v135
	s_delay_alu instid0(VALU_DEP_2) | instskip(NEXT) | instid1(VALU_DEP_2)
	v_cmp_ne_u32_e32 vcc_lo, 0, v84
	v_cndmask_b32_e32 v84, 0, v85, vcc_lo
.LBB4_136:                              ;   in Loop: Header=BB4_85 Depth=2
	s_or_b32 exec_lo, exec_lo, s19
.LBB4_137:                              ;   in Loop: Header=BB4_85 Depth=2
	s_delay_alu instid0(SALU_CYCLE_1) | instskip(SKIP_3) | instid1(VALU_DEP_1)
	s_or_b32 exec_lo, exec_lo, s18
	v_alignbit_b32 v85, v87, v96, v86
	s_mov_b32 s8, 0
	s_mov_b32 s19, exec_lo
                                        ; implicit-def: $sgpr18
	v_and_b32_e32 v96, 0xff, v85
	s_delay_alu instid0(VALU_DEP_1)
	v_cmpx_lt_i16_e32 0x7f, v96
	s_xor_b32 s19, exec_lo, s19
	s_cbranch_execnz .LBB4_199
; %bb.138:                              ;   in Loop: Header=BB4_85 Depth=2
	s_or_saveexec_b32 s19, s19
	v_mov_b32_e32 v87, s18
	s_xor_b32 exec_lo, exec_lo, s19
	s_cbranch_execnz .LBB4_202
.LBB4_139:                              ;   in Loop: Header=BB4_85 Depth=2
	s_or_b32 exec_lo, exec_lo, s19
	s_and_saveexec_b32 s18, s8
	s_cbranch_execz .LBB4_141
.LBB4_140:                              ;   in Loop: Header=BB4_85 Depth=2
	v_bfe_u32 v134, v85, 3, 4
	v_lshlrev_b32_e32 v135, 24, v85
	s_delay_alu instid0(VALU_DEP_2) | instskip(SKIP_1) | instid1(VALU_DEP_1)
	v_cmp_eq_u32_e32 vcc_lo, 0, v134
	v_and_b32_e32 v87, 7, v85
	v_clz_i32_u32_e32 v96, v87
	s_delay_alu instid0(VALU_DEP_1) | instskip(NEXT) | instid1(VALU_DEP_1)
	v_min_u32_e32 v96, 32, v96
	v_subrev_nc_u32_e32 v97, 28, v96
	v_sub_nc_u32_e32 v96, 29, v96
	s_delay_alu instid0(VALU_DEP_1) | instskip(NEXT) | instid1(VALU_DEP_1)
	v_dual_cndmask_b32 v96, v134, v96 :: v_dual_lshlrev_b32 v97, v97, v85
	v_and_b32_e32 v97, 7, v97
	s_delay_alu instid0(VALU_DEP_2) | instskip(NEXT) | instid1(VALU_DEP_2)
	v_lshl_add_u32 v96, v96, 23, 0x3b800000
	v_cndmask_b32_e32 v87, v87, v97, vcc_lo
	v_and_b32_e32 v97, 0x80000000, v135
	s_delay_alu instid0(VALU_DEP_2) | instskip(NEXT) | instid1(VALU_DEP_1)
	v_lshlrev_b32_e32 v87, 20, v87
	v_or3_b32 v87, v97, v96, v87
.LBB4_141:                              ;   in Loop: Header=BB4_85 Depth=2
	s_or_b32 exec_lo, exec_lo, s18
	s_delay_alu instid0(VALU_DEP_1) | instskip(NEXT) | instid1(VALU_DEP_1)
	v_mul_f32_e32 v96, v0, v87
	v_and_b32_e32 v87, 0x7f800000, v96
	s_delay_alu instid0(VALU_DEP_1)
	v_cmp_ne_u32_e32 vcc_lo, 0x7f800000, v87
	v_mov_b32_e32 v87, 0x80
	s_and_saveexec_b32 s18, vcc_lo
	s_cbranch_execz .LBB4_149
; %bb.142:                              ;   in Loop: Header=BB4_85 Depth=2
	v_mov_b32_e32 v87, 0
	s_mov_b32 s19, exec_lo
	v_cmpx_ne_u32_e32 0, v96
	s_cbranch_execz .LBB4_148
; %bb.143:                              ;   in Loop: Header=BB4_85 Depth=2
	v_bfe_u32 v87, v96, 23, 8
	s_delay_alu instid0(VALU_DEP_1) | instskip(SKIP_1) | instid1(VALU_DEP_2)
	v_sub_nc_u32_e32 v134, 0x78, v87
	v_cmp_gt_u32_e32 vcc_lo, 0x79, v87
	v_dual_cndmask_b32 v134, 0, v134 :: v_dual_and_b32 v97, 0x7fffff, v96
	s_delay_alu instid0(VALU_DEP_1) | instskip(SKIP_2) | instid1(VALU_DEP_4)
	v_or_b32_e32 v135, 0x800000, v97
	v_cmp_eq_u32_e32 vcc_lo, 0, v87
	v_add_nc_u32_e32 v87, 0xffffff89, v87
	v_cndmask_b32_e64 v134, v134, 0x77, vcc_lo
	s_delay_alu instid0(VALU_DEP_2) | instskip(SKIP_1) | instid1(VALU_DEP_3)
	v_cndmask_b32_e64 v87, v87, 0xffffff8a, vcc_lo
	v_cndmask_b32_e32 v97, v135, v97, vcc_lo
	v_lshl_add_u32 v135, 0x100000, v134, -1
	v_lshlrev_b32_e64 v146, v134, 0x80000
	s_delay_alu instid0(VALU_DEP_3) | instskip(SKIP_1) | instid1(VALU_DEP_4)
	v_lshrrev_b32_e32 v144, v134, v97
	v_add_nc_u32_e32 v134, v134, v87
	v_and_b32_e32 v97, v135, v97
	s_delay_alu instid0(VALU_DEP_3) | instskip(NEXT) | instid1(VALU_DEP_2)
	v_bfe_u32 v145, v144, 20, 1
	v_cmp_eq_u32_e64 s8, v97, v146
	s_delay_alu instid0(VALU_DEP_2) | instskip(NEXT) | instid1(VALU_DEP_1)
	v_add_nc_u32_e32 v135, -1, v145
	v_cndmask_b32_e64 v97, 0, v135, s8
	v_lshrrev_b32_e32 v135, 23, v144
	s_mov_b32 s8, exec_lo
	s_delay_alu instid0(VALU_DEP_2) | instskip(NEXT) | instid1(VALU_DEP_2)
	v_add_nc_u32_e32 v97, v97, v144
	v_xor_b32_e32 v135, 1, v135
	s_delay_alu instid0(VALU_DEP_2) | instskip(NEXT) | instid1(VALU_DEP_1)
	v_and_b32_e32 v87, 0xfffff, v97
	v_add_nc_u32_e32 v97, v87, v144
                                        ; implicit-def: $vgpr87
	s_delay_alu instid0(VALU_DEP_3)
	v_cmpx_ne_u32_e64 v134, v135
	s_xor_b32 s8, exec_lo, s8
; %bb.144:                              ;   in Loop: Header=BB4_85 Depth=2
	s_delay_alu instid0(VALU_DEP_2) | instskip(SKIP_2) | instid1(VALU_DEP_2)
	v_cmp_lt_u32_e32 vcc_lo, 0xffffff, v97
	v_sub_nc_u32_e32 v87, v134, v135
	v_cndmask_b32_e64 v134, 0, 1, vcc_lo
	v_add_co_ci_u32_e32 v87, vcc_lo, 0, v87, vcc_lo
	s_delay_alu instid0(VALU_DEP_2)
	v_lshrrev_b32_e32 v97, v134, v97
; %bb.145:                              ;   in Loop: Header=BB4_85 Depth=2
	s_and_not1_saveexec_b32 s8, s8
; %bb.146:                              ;   in Loop: Header=BB4_85 Depth=2
	s_delay_alu instid0(VALU_DEP_1)
	v_bfe_u32 v87, v97, 23, 1
; %bb.147:                              ;   in Loop: Header=BB4_85 Depth=2
	s_or_b32 exec_lo, exec_lo, s8
	v_lshrrev_b32_e32 v97, 20, v97
	s_delay_alu instid0(VALU_DEP_2) | instskip(SKIP_2) | instid1(VALU_DEP_2)
	v_cmp_gt_i32_e32 vcc_lo, 16, v87
	v_min_i32_e32 v134, 15, v87
	v_lshrrev_b32_e32 v96, 24, v96
	v_dual_cndmask_b32 v97, 7, v97 :: v_dual_lshlrev_b32 v134, 3, v134
	s_delay_alu instid0(VALU_DEP_2) | instskip(NEXT) | instid1(VALU_DEP_2)
	v_and_b32_e32 v96, 0x80, v96
	v_or_b32_e32 v87, v87, v97
	v_and_b32_e32 v135, 7, v97
	s_delay_alu instid0(VALU_DEP_2) | instskip(SKIP_1) | instid1(VALU_DEP_1)
	v_cmp_ne_u32_e32 vcc_lo, 0, v87
	v_and_b32_e32 v134, 0xf8, v134
	v_or3_b32 v96, v134, v96, v135
	s_delay_alu instid0(VALU_DEP_1)
	v_cndmask_b32_e32 v87, 0, v96, vcc_lo
.LBB4_148:                              ;   in Loop: Header=BB4_85 Depth=2
	s_or_b32 exec_lo, exec_lo, s19
.LBB4_149:                              ;   in Loop: Header=BB4_85 Depth=2
	s_delay_alu instid0(SALU_CYCLE_1) | instskip(SKIP_3) | instid1(VALU_DEP_1)
	s_or_b32 exec_lo, exec_lo, s18
	v_lshrrev_b16 v96, 8, v85
	s_mov_b32 s8, 0
	s_mov_b32 s19, exec_lo
                                        ; implicit-def: $sgpr18
	v_cmpx_lt_i16_e32 0x7f, v96
	s_xor_b32 s19, exec_lo, s19
	s_cbranch_execnz .LBB4_203
; %bb.150:                              ;   in Loop: Header=BB4_85 Depth=2
	s_or_saveexec_b32 s19, s19
	v_mov_b32_e32 v97, s18
	s_xor_b32 exec_lo, exec_lo, s19
	s_cbranch_execnz .LBB4_206
.LBB4_151:                              ;   in Loop: Header=BB4_85 Depth=2
	s_or_b32 exec_lo, exec_lo, s19
	s_and_saveexec_b32 s18, s8
	s_cbranch_execz .LBB4_153
.LBB4_152:                              ;   in Loop: Header=BB4_85 Depth=2
	v_and_b32_e32 v97, 0xffff, v96
	v_lshlrev_b32_e32 v96, 24, v96
	s_delay_alu instid0(VALU_DEP_2) | instskip(NEXT) | instid1(VALU_DEP_2)
	v_and_b32_e32 v134, 7, v97
	v_and_b32_e32 v96, 0x80000000, v96
	s_delay_alu instid0(VALU_DEP_2) | instskip(NEXT) | instid1(VALU_DEP_1)
	v_clz_i32_u32_e32 v135, v134
	v_min_u32_e32 v135, 32, v135
	s_delay_alu instid0(VALU_DEP_1) | instskip(SKIP_1) | instid1(VALU_DEP_2)
	v_subrev_nc_u32_e32 v144, 28, v135
	v_sub_nc_u32_e32 v135, 29, v135
	v_lshlrev_b32_e32 v144, v144, v97
	v_bfe_u32 v97, v97, 3, 4
	s_delay_alu instid0(VALU_DEP_2) | instskip(NEXT) | instid1(VALU_DEP_2)
	v_and_b32_e32 v144, 7, v144
	v_cmp_eq_u32_e32 vcc_lo, 0, v97
	s_delay_alu instid0(VALU_DEP_2) | instskip(NEXT) | instid1(VALU_DEP_1)
	v_dual_cndmask_b32 v97, v97, v135 :: v_dual_cndmask_b32 v134, v134, v144
	v_lshl_add_u32 v97, v97, 23, 0x3b800000
	s_delay_alu instid0(VALU_DEP_2) | instskip(NEXT) | instid1(VALU_DEP_1)
	v_lshlrev_b32_e32 v134, 20, v134
	v_or3_b32 v97, v96, v97, v134
.LBB4_153:                              ;   in Loop: Header=BB4_85 Depth=2
	s_or_b32 exec_lo, exec_lo, s18
	s_delay_alu instid0(VALU_DEP_1) | instskip(NEXT) | instid1(VALU_DEP_1)
	v_mul_f32_e32 v97, v0, v97
	v_and_b32_e32 v96, 0x7f800000, v97
	s_delay_alu instid0(VALU_DEP_1)
	v_cmp_ne_u32_e32 vcc_lo, 0x7f800000, v96
	v_mov_b32_e32 v96, 0x8000
	s_and_saveexec_b32 s18, vcc_lo
	s_cbranch_execz .LBB4_161
; %bb.154:                              ;   in Loop: Header=BB4_85 Depth=2
	v_mov_b32_e32 v96, 0
	s_mov_b32 s19, exec_lo
	v_cmpx_ne_u32_e32 0, v97
	s_cbranch_execz .LBB4_160
; %bb.155:                              ;   in Loop: Header=BB4_85 Depth=2
	v_bfe_u32 v96, v97, 23, 8
	s_delay_alu instid0(VALU_DEP_1) | instskip(SKIP_1) | instid1(VALU_DEP_2)
	v_sub_nc_u32_e32 v135, 0x78, v96
	v_cmp_gt_u32_e32 vcc_lo, 0x79, v96
	v_dual_cndmask_b32 v135, 0, v135 :: v_dual_and_b32 v134, 0x7fffff, v97
	s_delay_alu instid0(VALU_DEP_1) | instskip(SKIP_2) | instid1(VALU_DEP_4)
	v_or_b32_e32 v144, 0x800000, v134
	v_cmp_eq_u32_e32 vcc_lo, 0, v96
	v_add_nc_u32_e32 v96, 0xffffff89, v96
	v_cndmask_b32_e64 v135, v135, 0x77, vcc_lo
	s_delay_alu instid0(VALU_DEP_2) | instskip(SKIP_1) | instid1(VALU_DEP_3)
	v_cndmask_b32_e64 v96, v96, 0xffffff8a, vcc_lo
	v_cndmask_b32_e32 v134, v144, v134, vcc_lo
	v_lshl_add_u32 v144, 0x100000, v135, -1
	v_lshlrev_b32_e64 v147, v135, 0x80000
	s_delay_alu instid0(VALU_DEP_3) | instskip(SKIP_1) | instid1(VALU_DEP_4)
	v_lshrrev_b32_e32 v145, v135, v134
	v_add_nc_u32_e32 v135, v135, v96
	v_and_b32_e32 v134, v144, v134
	s_delay_alu instid0(VALU_DEP_3) | instskip(NEXT) | instid1(VALU_DEP_2)
	v_bfe_u32 v146, v145, 20, 1
	v_cmp_eq_u32_e64 s8, v134, v147
	s_delay_alu instid0(VALU_DEP_2) | instskip(NEXT) | instid1(VALU_DEP_1)
	v_add_nc_u32_e32 v144, -1, v146
	v_cndmask_b32_e64 v134, 0, v144, s8
	v_lshrrev_b32_e32 v144, 23, v145
	s_mov_b32 s8, exec_lo
	s_delay_alu instid0(VALU_DEP_2) | instskip(NEXT) | instid1(VALU_DEP_2)
	v_add_nc_u32_e32 v134, v134, v145
	v_xor_b32_e32 v144, 1, v144
	s_delay_alu instid0(VALU_DEP_2) | instskip(NEXT) | instid1(VALU_DEP_1)
	v_and_b32_e32 v96, 0xfffff, v134
	v_add_nc_u32_e32 v134, v96, v145
                                        ; implicit-def: $vgpr96
	s_delay_alu instid0(VALU_DEP_3)
	v_cmpx_ne_u32_e64 v135, v144
	s_xor_b32 s8, exec_lo, s8
; %bb.156:                              ;   in Loop: Header=BB4_85 Depth=2
	s_delay_alu instid0(VALU_DEP_2) | instskip(SKIP_2) | instid1(VALU_DEP_2)
	v_cmp_lt_u32_e32 vcc_lo, 0xffffff, v134
	v_sub_nc_u32_e32 v96, v135, v144
	v_cndmask_b32_e64 v135, 0, 1, vcc_lo
	v_add_co_ci_u32_e32 v96, vcc_lo, 0, v96, vcc_lo
	s_delay_alu instid0(VALU_DEP_2)
	v_lshrrev_b32_e32 v134, v135, v134
; %bb.157:                              ;   in Loop: Header=BB4_85 Depth=2
	s_and_not1_saveexec_b32 s8, s8
; %bb.158:                              ;   in Loop: Header=BB4_85 Depth=2
	s_delay_alu instid0(VALU_DEP_1)
	v_bfe_u32 v96, v134, 23, 1
; %bb.159:                              ;   in Loop: Header=BB4_85 Depth=2
	s_or_b32 exec_lo, exec_lo, s8
	v_lshrrev_b32_e32 v134, 20, v134
	s_delay_alu instid0(VALU_DEP_2) | instskip(SKIP_2) | instid1(VALU_DEP_2)
	v_cmp_gt_i32_e32 vcc_lo, 16, v96
	v_min_i32_e32 v135, 15, v96
	v_lshrrev_b32_e32 v97, 24, v97
	v_dual_cndmask_b32 v134, 7, v134 :: v_dual_lshlrev_b32 v135, 3, v135
	s_delay_alu instid0(VALU_DEP_2) | instskip(NEXT) | instid1(VALU_DEP_2)
	v_and_b32_e32 v97, 0x80, v97
	v_or_b32_e32 v96, v96, v134
	v_and_b32_e32 v144, 7, v134
	s_delay_alu instid0(VALU_DEP_2) | instskip(SKIP_1) | instid1(VALU_DEP_1)
	v_cmp_ne_u32_e32 vcc_lo, 0, v96
	v_and_b32_e32 v135, 0xf8, v135
	v_or3_b32 v97, v97, v135, v144
	s_delay_alu instid0(VALU_DEP_1) | instskip(NEXT) | instid1(VALU_DEP_1)
	v_lshlrev_b32_e32 v97, 8, v97
	v_cndmask_b32_e32 v96, 0, v97, vcc_lo
.LBB4_160:                              ;   in Loop: Header=BB4_85 Depth=2
	s_or_b32 exec_lo, exec_lo, s19
.LBB4_161:                              ;   in Loop: Header=BB4_85 Depth=2
	s_delay_alu instid0(SALU_CYCLE_1) | instskip(SKIP_3) | instid1(VALU_DEP_1)
	s_or_b32 exec_lo, exec_lo, s18
	v_lshrrev_b32_e32 v97, 16, v85
	s_mov_b32 s8, 0
	s_mov_b32 s19, exec_lo
                                        ; implicit-def: $sgpr18
	v_and_b32_e32 v135, 0xff, v97
	s_delay_alu instid0(VALU_DEP_1)
	v_cmpx_lt_i16_e64 0x7f, v135
	s_xor_b32 s19, exec_lo, s19
	s_cbranch_execnz .LBB4_207
; %bb.162:                              ;   in Loop: Header=BB4_85 Depth=2
	s_or_saveexec_b32 s19, s19
	v_mov_b32_e32 v134, s18
	s_xor_b32 exec_lo, exec_lo, s19
	s_cbranch_execnz .LBB4_210
.LBB4_163:                              ;   in Loop: Header=BB4_85 Depth=2
	s_or_b32 exec_lo, exec_lo, s19
	s_and_saveexec_b32 s18, s8
	s_cbranch_execz .LBB4_165
.LBB4_164:                              ;   in Loop: Header=BB4_85 Depth=2
	v_bfe_u32 v134, v85, 16, 3
	v_lshlrev_b32_e32 v145, 8, v85
	s_delay_alu instid0(VALU_DEP_2) | instskip(NEXT) | instid1(VALU_DEP_1)
	v_clz_i32_u32_e32 v135, v134
	v_min_u32_e32 v135, 32, v135
	s_delay_alu instid0(VALU_DEP_1) | instskip(SKIP_1) | instid1(VALU_DEP_2)
	v_subrev_nc_u32_e32 v144, 28, v135
	v_sub_nc_u32_e32 v135, 29, v135
	v_lshlrev_b32_e32 v97, v144, v97
	v_bfe_u32 v144, v85, 19, 4
	s_delay_alu instid0(VALU_DEP_2) | instskip(NEXT) | instid1(VALU_DEP_2)
	v_and_b32_e32 v97, 7, v97
	v_cmp_eq_u32_e32 vcc_lo, 0, v144
	v_cndmask_b32_e32 v135, v144, v135, vcc_lo
	s_delay_alu instid0(VALU_DEP_3) | instskip(SKIP_1) | instid1(VALU_DEP_3)
	v_cndmask_b32_e32 v97, v134, v97, vcc_lo
	v_and_b32_e32 v134, 0x80000000, v145
	v_lshl_add_u32 v135, v135, 23, 0x3b800000
	s_delay_alu instid0(VALU_DEP_3) | instskip(NEXT) | instid1(VALU_DEP_1)
	v_lshlrev_b32_e32 v97, 20, v97
	v_or3_b32 v134, v134, v135, v97
.LBB4_165:                              ;   in Loop: Header=BB4_85 Depth=2
	s_or_b32 exec_lo, exec_lo, s18
	s_delay_alu instid0(VALU_DEP_1) | instskip(NEXT) | instid1(VALU_DEP_1)
	v_mul_f32_e32 v134, v0, v134
	v_and_b32_e32 v97, 0x7f800000, v134
	s_delay_alu instid0(VALU_DEP_1)
	v_cmp_ne_u32_e32 vcc_lo, 0x7f800000, v97
	v_mov_b32_e32 v97, 0x80
	s_and_saveexec_b32 s18, vcc_lo
	s_cbranch_execz .LBB4_173
; %bb.166:                              ;   in Loop: Header=BB4_85 Depth=2
	v_mov_b32_e32 v97, 0
	s_mov_b32 s19, exec_lo
	v_cmpx_ne_u32_e32 0, v134
	s_cbranch_execz .LBB4_172
; %bb.167:                              ;   in Loop: Header=BB4_85 Depth=2
	v_bfe_u32 v97, v134, 23, 8
	s_delay_alu instid0(VALU_DEP_1) | instskip(SKIP_1) | instid1(VALU_DEP_2)
	v_sub_nc_u32_e32 v144, 0x78, v97
	v_cmp_gt_u32_e32 vcc_lo, 0x79, v97
	v_dual_cndmask_b32 v144, 0, v144 :: v_dual_and_b32 v135, 0x7fffff, v134
	s_delay_alu instid0(VALU_DEP_1) | instskip(SKIP_2) | instid1(VALU_DEP_4)
	v_or_b32_e32 v145, 0x800000, v135
	v_cmp_eq_u32_e32 vcc_lo, 0, v97
	v_add_nc_u32_e32 v97, 0xffffff89, v97
	v_cndmask_b32_e64 v144, v144, 0x77, vcc_lo
	s_delay_alu instid0(VALU_DEP_2) | instskip(SKIP_1) | instid1(VALU_DEP_3)
	v_cndmask_b32_e64 v97, v97, 0xffffff8a, vcc_lo
	v_cndmask_b32_e32 v135, v145, v135, vcc_lo
	v_lshl_add_u32 v145, 0x100000, v144, -1
	v_lshlrev_b32_e64 v148, v144, 0x80000
	s_delay_alu instid0(VALU_DEP_3) | instskip(SKIP_1) | instid1(VALU_DEP_4)
	v_lshrrev_b32_e32 v146, v144, v135
	v_add_nc_u32_e32 v144, v144, v97
	v_and_b32_e32 v135, v145, v135
	s_delay_alu instid0(VALU_DEP_3) | instskip(NEXT) | instid1(VALU_DEP_2)
	v_bfe_u32 v147, v146, 20, 1
	v_cmp_eq_u32_e64 s8, v135, v148
	s_delay_alu instid0(VALU_DEP_2) | instskip(NEXT) | instid1(VALU_DEP_1)
	v_add_nc_u32_e32 v145, -1, v147
	v_cndmask_b32_e64 v135, 0, v145, s8
	v_lshrrev_b32_e32 v145, 23, v146
	s_mov_b32 s8, exec_lo
	s_delay_alu instid0(VALU_DEP_2) | instskip(NEXT) | instid1(VALU_DEP_2)
	v_add_nc_u32_e32 v135, v135, v146
	v_xor_b32_e32 v145, 1, v145
	s_delay_alu instid0(VALU_DEP_2) | instskip(NEXT) | instid1(VALU_DEP_1)
	v_and_b32_e32 v97, 0xfffff, v135
	v_add_nc_u32_e32 v135, v97, v146
                                        ; implicit-def: $vgpr97
	s_delay_alu instid0(VALU_DEP_3)
	v_cmpx_ne_u32_e64 v144, v145
	s_xor_b32 s8, exec_lo, s8
; %bb.168:                              ;   in Loop: Header=BB4_85 Depth=2
	s_delay_alu instid0(VALU_DEP_2) | instskip(SKIP_2) | instid1(VALU_DEP_2)
	v_cmp_lt_u32_e32 vcc_lo, 0xffffff, v135
	v_sub_nc_u32_e32 v97, v144, v145
	v_cndmask_b32_e64 v144, 0, 1, vcc_lo
	v_add_co_ci_u32_e32 v97, vcc_lo, 0, v97, vcc_lo
	s_delay_alu instid0(VALU_DEP_2)
	v_lshrrev_b32_e32 v135, v144, v135
; %bb.169:                              ;   in Loop: Header=BB4_85 Depth=2
	s_and_not1_saveexec_b32 s8, s8
; %bb.170:                              ;   in Loop: Header=BB4_85 Depth=2
	s_delay_alu instid0(VALU_DEP_1)
	v_bfe_u32 v97, v135, 23, 1
; %bb.171:                              ;   in Loop: Header=BB4_85 Depth=2
	s_or_b32 exec_lo, exec_lo, s8
	v_lshrrev_b32_e32 v135, 20, v135
	s_delay_alu instid0(VALU_DEP_2) | instskip(SKIP_2) | instid1(VALU_DEP_2)
	v_cmp_gt_i32_e32 vcc_lo, 16, v97
	v_min_i32_e32 v144, 15, v97
	v_lshrrev_b32_e32 v134, 24, v134
	v_dual_cndmask_b32 v135, 7, v135 :: v_dual_lshlrev_b32 v144, 3, v144
	s_delay_alu instid0(VALU_DEP_2) | instskip(NEXT) | instid1(VALU_DEP_2)
	v_and_b32_e32 v134, 0x80, v134
	v_or_b32_e32 v97, v97, v135
	v_and_b32_e32 v145, 7, v135
	s_delay_alu instid0(VALU_DEP_2) | instskip(SKIP_1) | instid1(VALU_DEP_1)
	v_cmp_ne_u32_e32 vcc_lo, 0, v97
	v_and_b32_e32 v144, 0xf8, v144
	v_or3_b32 v134, v144, v134, v145
	s_delay_alu instid0(VALU_DEP_1)
	v_cndmask_b32_e32 v97, 0, v134, vcc_lo
.LBB4_172:                              ;   in Loop: Header=BB4_85 Depth=2
	s_or_b32 exec_lo, exec_lo, s19
.LBB4_173:                              ;   in Loop: Header=BB4_85 Depth=2
	s_delay_alu instid0(SALU_CYCLE_1) | instskip(SKIP_3) | instid1(VALU_DEP_1)
	s_or_b32 exec_lo, exec_lo, s18
	v_lshrrev_b32_e32 v134, 24, v85
	s_mov_b32 s8, 0
	s_mov_b32 s19, exec_lo
                                        ; implicit-def: $sgpr18
	v_cmpx_lt_i16_e64 0x7f, v134
	s_xor_b32 s19, exec_lo, s19
	s_cbranch_execnz .LBB4_211
; %bb.174:                              ;   in Loop: Header=BB4_85 Depth=2
	s_or_saveexec_b32 s19, s19
	v_mov_b32_e32 v135, s18
	s_xor_b32 exec_lo, exec_lo, s19
	s_cbranch_execnz .LBB4_214
.LBB4_175:                              ;   in Loop: Header=BB4_85 Depth=2
	s_or_b32 exec_lo, exec_lo, s19
	s_and_saveexec_b32 s18, s8
	s_cbranch_execz .LBB4_177
.LBB4_176:                              ;   in Loop: Header=BB4_85 Depth=2
	v_bfe_u32 v135, v85, 24, 3
	s_delay_alu instid0(VALU_DEP_1) | instskip(NEXT) | instid1(VALU_DEP_1)
	v_clz_i32_u32_e32 v144, v135
	v_min_u32_e32 v144, 32, v144
	s_delay_alu instid0(VALU_DEP_1) | instskip(SKIP_1) | instid1(VALU_DEP_2)
	v_subrev_nc_u32_e32 v145, 28, v144
	v_sub_nc_u32_e32 v144, 29, v144
	v_lshlrev_b32_e32 v134, v145, v134
	v_bfe_u32 v145, v85, 27, 4
	v_and_b32_e32 v85, 0x80000000, v85
	s_delay_alu instid0(VALU_DEP_3) | instskip(NEXT) | instid1(VALU_DEP_3)
	v_and_b32_e32 v134, 7, v134
	v_cmp_eq_u32_e32 vcc_lo, 0, v145
	v_cndmask_b32_e32 v144, v145, v144, vcc_lo
	s_delay_alu instid0(VALU_DEP_3) | instskip(NEXT) | instid1(VALU_DEP_2)
	v_cndmask_b32_e32 v134, v135, v134, vcc_lo
	v_lshl_add_u32 v135, v144, 23, 0x3b800000
	s_delay_alu instid0(VALU_DEP_2) | instskip(NEXT) | instid1(VALU_DEP_1)
	v_lshlrev_b32_e32 v134, 20, v134
	v_or3_b32 v135, v85, v135, v134
.LBB4_177:                              ;   in Loop: Header=BB4_85 Depth=2
	s_or_b32 exec_lo, exec_lo, s18
	s_delay_alu instid0(VALU_DEP_1) | instskip(NEXT) | instid1(VALU_DEP_1)
	v_mul_f32_e32 v85, v0, v135
	v_and_b32_e32 v134, 0x7f800000, v85
	s_delay_alu instid0(VALU_DEP_1)
	v_cmp_ne_u32_e32 vcc_lo, 0x7f800000, v134
	v_mov_b32_e32 v134, 0x8000
	s_and_saveexec_b32 s18, vcc_lo
	s_cbranch_execz .LBB4_84
; %bb.178:                              ;   in Loop: Header=BB4_85 Depth=2
	v_mov_b32_e32 v134, 0
	s_mov_b32 s19, exec_lo
	v_cmpx_ne_u32_e32 0, v85
	s_cbranch_execz .LBB4_83
; %bb.179:                              ;   in Loop: Header=BB4_85 Depth=2
	v_bfe_u32 v134, v85, 23, 8
	s_delay_alu instid0(VALU_DEP_1) | instskip(SKIP_1) | instid1(VALU_DEP_2)
	v_sub_nc_u32_e32 v144, 0x78, v134
	v_cmp_gt_u32_e32 vcc_lo, 0x79, v134
	v_dual_cndmask_b32 v144, 0, v144 :: v_dual_and_b32 v135, 0x7fffff, v85
	s_delay_alu instid0(VALU_DEP_1) | instskip(SKIP_2) | instid1(VALU_DEP_4)
	v_or_b32_e32 v145, 0x800000, v135
	v_cmp_eq_u32_e32 vcc_lo, 0, v134
	v_add_nc_u32_e32 v134, 0xffffff89, v134
	v_cndmask_b32_e64 v144, v144, 0x77, vcc_lo
	s_delay_alu instid0(VALU_DEP_4) | instskip(NEXT) | instid1(VALU_DEP_3)
	v_cndmask_b32_e32 v135, v145, v135, vcc_lo
	v_cndmask_b32_e64 v134, v134, 0xffffff8a, vcc_lo
	s_delay_alu instid0(VALU_DEP_3) | instskip(NEXT) | instid1(VALU_DEP_3)
	v_lshl_add_u32 v145, 0x100000, v144, -1
	v_lshrrev_b32_e32 v146, v144, v135
	v_lshlrev_b32_e64 v148, v144, 0x80000
	s_delay_alu instid0(VALU_DEP_4) | instskip(NEXT) | instid1(VALU_DEP_4)
	v_add_nc_u32_e32 v144, v144, v134
	v_and_b32_e32 v135, v145, v135
	s_delay_alu instid0(VALU_DEP_4) | instskip(NEXT) | instid1(VALU_DEP_2)
	v_bfe_u32 v147, v146, 20, 1
	v_cmp_eq_u32_e64 s8, v135, v148
	s_delay_alu instid0(VALU_DEP_2) | instskip(NEXT) | instid1(VALU_DEP_1)
	v_add_nc_u32_e32 v145, -1, v147
	v_cndmask_b32_e64 v135, 0, v145, s8
	v_lshrrev_b32_e32 v145, 23, v146
	s_mov_b32 s8, exec_lo
	s_delay_alu instid0(VALU_DEP_2) | instskip(NEXT) | instid1(VALU_DEP_2)
	v_add_nc_u32_e32 v135, v135, v146
	v_xor_b32_e32 v145, 1, v145
	s_delay_alu instid0(VALU_DEP_2) | instskip(NEXT) | instid1(VALU_DEP_1)
	v_and_b32_e32 v134, 0xfffff, v135
	v_add_nc_u32_e32 v135, v134, v146
                                        ; implicit-def: $vgpr134
	s_delay_alu instid0(VALU_DEP_3)
	v_cmpx_ne_u32_e64 v144, v145
	s_xor_b32 s8, exec_lo, s8
; %bb.180:                              ;   in Loop: Header=BB4_85 Depth=2
	s_delay_alu instid0(VALU_DEP_2) | instskip(SKIP_2) | instid1(VALU_DEP_2)
	v_cmp_lt_u32_e32 vcc_lo, 0xffffff, v135
	v_sub_nc_u32_e32 v134, v144, v145
	v_cndmask_b32_e64 v144, 0, 1, vcc_lo
	v_add_co_ci_u32_e32 v134, vcc_lo, 0, v134, vcc_lo
	s_delay_alu instid0(VALU_DEP_2)
	v_lshrrev_b32_e32 v135, v144, v135
; %bb.181:                              ;   in Loop: Header=BB4_85 Depth=2
	s_and_not1_saveexec_b32 s8, s8
	s_cbranch_execz .LBB4_82
; %bb.182:                              ;   in Loop: Header=BB4_85 Depth=2
	s_delay_alu instid0(VALU_DEP_1)
	v_bfe_u32 v134, v135, 23, 1
	s_branch .LBB4_82
.LBB4_183:                              ;   in Loop: Header=BB4_85 Depth=2
	s_mov_b32 s8, -1
	s_mov_b32 s20, exec_lo
                                        ; implicit-def: $sgpr18
	v_cmpx_eq_u16_e32 0x80, v19
; %bb.184:                              ;   in Loop: Header=BB4_85 Depth=2
	s_mov_b32 s18, 0x7f800001
	s_xor_b32 s8, exec_lo, -1
; %bb.185:                              ;   in Loop: Header=BB4_85 Depth=2
	s_or_b32 exec_lo, exec_lo, s20
	s_delay_alu instid0(SALU_CYCLE_1)
	s_and_b32 s8, s8, exec_lo
                                        ; implicit-def: $vgpr19
	s_or_saveexec_b32 s19, s19
	v_mov_b32_e32 v17, s18
	s_xor_b32 exec_lo, exec_lo, s19
	s_cbranch_execz .LBB4_91
.LBB4_186:                              ;   in Loop: Header=BB4_85 Depth=2
	v_cmp_ne_u16_e32 vcc_lo, 0, v19
	v_mov_b32_e32 v17, 0
	s_and_not1_b32 s8, s8, exec_lo
	s_and_b32 s18, vcc_lo, exec_lo
	s_delay_alu instid0(SALU_CYCLE_1)
	s_or_b32 s8, s8, s18
	s_or_b32 exec_lo, exec_lo, s19
	s_and_saveexec_b32 s18, s8
	s_cbranch_execnz .LBB4_92
	s_branch .LBB4_93
.LBB4_187:                              ;   in Loop: Header=BB4_85 Depth=2
	s_mov_b32 s8, -1
	s_mov_b32 s20, exec_lo
                                        ; implicit-def: $sgpr18
	v_cmpx_eq_u16_e32 0x80, v19
; %bb.188:                              ;   in Loop: Header=BB4_85 Depth=2
	s_mov_b32 s18, 0x7f800001
	s_xor_b32 s8, exec_lo, -1
; %bb.189:                              ;   in Loop: Header=BB4_85 Depth=2
	s_or_b32 exec_lo, exec_lo, s20
	s_delay_alu instid0(SALU_CYCLE_1)
	s_and_b32 s8, s8, exec_lo
	s_or_saveexec_b32 s19, s19
	v_mov_b32_e32 v20, s18
	s_xor_b32 exec_lo, exec_lo, s19
	s_cbranch_execz .LBB4_103
.LBB4_190:                              ;   in Loop: Header=BB4_85 Depth=2
	v_cmp_ne_u16_e32 vcc_lo, 0, v19
	v_mov_b32_e32 v20, 0
	s_and_not1_b32 s8, s8, exec_lo
	s_and_b32 s18, vcc_lo, exec_lo
	s_delay_alu instid0(SALU_CYCLE_1)
	s_or_b32 s8, s8, s18
	s_or_b32 exec_lo, exec_lo, s19
	s_and_saveexec_b32 s18, s8
	s_cbranch_execnz .LBB4_104
	s_branch .LBB4_105
.LBB4_191:                              ;   in Loop: Header=BB4_85 Depth=2
	s_mov_b32 s8, -1
	s_mov_b32 s20, exec_lo
                                        ; implicit-def: $sgpr18
	v_cmpx_eq_u16_e32 0x80, v97
; %bb.192:                              ;   in Loop: Header=BB4_85 Depth=2
	s_mov_b32 s18, 0x7f800001
	s_xor_b32 s8, exec_lo, -1
; %bb.193:                              ;   in Loop: Header=BB4_85 Depth=2
	s_or_b32 exec_lo, exec_lo, s20
	s_delay_alu instid0(SALU_CYCLE_1)
	s_and_b32 s8, s8, exec_lo
                                        ; implicit-def: $vgpr97
	s_or_saveexec_b32 s19, s19
	v_mov_b32_e32 v85, s18
	s_xor_b32 exec_lo, exec_lo, s19
	s_cbranch_execz .LBB4_115
.LBB4_194:                              ;   in Loop: Header=BB4_85 Depth=2
	v_cmp_ne_u16_e32 vcc_lo, 0, v97
	v_mov_b32_e32 v85, 0
	s_and_not1_b32 s8, s8, exec_lo
	s_and_b32 s18, vcc_lo, exec_lo
	s_delay_alu instid0(SALU_CYCLE_1)
	s_or_b32 s8, s8, s18
	s_or_b32 exec_lo, exec_lo, s19
	s_and_saveexec_b32 s18, s8
	s_cbranch_execnz .LBB4_116
	s_branch .LBB4_117
.LBB4_195:                              ;   in Loop: Header=BB4_85 Depth=2
	s_mov_b32 s8, -1
	s_mov_b32 s20, exec_lo
                                        ; implicit-def: $sgpr18
	v_cmpx_eq_u16_e32 0x80, v85
; %bb.196:                              ;   in Loop: Header=BB4_85 Depth=2
	s_mov_b32 s18, 0x7f800001
	s_xor_b32 s8, exec_lo, -1
; %bb.197:                              ;   in Loop: Header=BB4_85 Depth=2
	s_or_b32 exec_lo, exec_lo, s20
	s_delay_alu instid0(SALU_CYCLE_1)
	s_and_b32 s8, s8, exec_lo
	s_or_saveexec_b32 s19, s19
	v_mov_b32_e32 v97, s18
	s_xor_b32 exec_lo, exec_lo, s19
	s_cbranch_execz .LBB4_127
.LBB4_198:                              ;   in Loop: Header=BB4_85 Depth=2
	v_cmp_ne_u16_e32 vcc_lo, 0, v85
	v_mov_b32_e32 v97, 0
	s_and_not1_b32 s8, s8, exec_lo
	s_and_b32 s18, vcc_lo, exec_lo
	s_delay_alu instid0(SALU_CYCLE_1)
	s_or_b32 s8, s8, s18
	s_or_b32 exec_lo, exec_lo, s19
	s_and_saveexec_b32 s18, s8
	s_cbranch_execnz .LBB4_128
	s_branch .LBB4_129
.LBB4_199:                              ;   in Loop: Header=BB4_85 Depth=2
	s_mov_b32 s8, -1
	s_mov_b32 s20, exec_lo
                                        ; implicit-def: $sgpr18
	v_cmpx_eq_u16_e32 0x80, v96
; %bb.200:                              ;   in Loop: Header=BB4_85 Depth=2
	s_mov_b32 s18, 0x7f800001
	s_xor_b32 s8, exec_lo, -1
; %bb.201:                              ;   in Loop: Header=BB4_85 Depth=2
	s_or_b32 exec_lo, exec_lo, s20
	s_delay_alu instid0(SALU_CYCLE_1)
	s_and_b32 s8, s8, exec_lo
                                        ; implicit-def: $vgpr96
	s_or_saveexec_b32 s19, s19
	v_mov_b32_e32 v87, s18
	s_xor_b32 exec_lo, exec_lo, s19
	s_cbranch_execz .LBB4_139
.LBB4_202:                              ;   in Loop: Header=BB4_85 Depth=2
	v_cmp_ne_u16_e32 vcc_lo, 0, v96
	v_mov_b32_e32 v87, 0
	s_and_not1_b32 s8, s8, exec_lo
	s_and_b32 s18, vcc_lo, exec_lo
	s_delay_alu instid0(SALU_CYCLE_1)
	s_or_b32 s8, s8, s18
	s_or_b32 exec_lo, exec_lo, s19
	s_and_saveexec_b32 s18, s8
	s_cbranch_execnz .LBB4_140
	s_branch .LBB4_141
.LBB4_203:                              ;   in Loop: Header=BB4_85 Depth=2
	s_mov_b32 s8, -1
	s_mov_b32 s20, exec_lo
                                        ; implicit-def: $sgpr18
	v_cmpx_eq_u16_e32 0x80, v96
; %bb.204:                              ;   in Loop: Header=BB4_85 Depth=2
	s_mov_b32 s18, 0x7f800001
	s_xor_b32 s8, exec_lo, -1
; %bb.205:                              ;   in Loop: Header=BB4_85 Depth=2
	s_or_b32 exec_lo, exec_lo, s20
	s_delay_alu instid0(SALU_CYCLE_1)
	s_and_b32 s8, s8, exec_lo
	s_or_saveexec_b32 s19, s19
	v_mov_b32_e32 v97, s18
	s_xor_b32 exec_lo, exec_lo, s19
	s_cbranch_execz .LBB4_151
.LBB4_206:                              ;   in Loop: Header=BB4_85 Depth=2
	v_cmp_ne_u16_e32 vcc_lo, 0, v96
	v_mov_b32_e32 v97, 0
	s_and_not1_b32 s8, s8, exec_lo
	s_and_b32 s18, vcc_lo, exec_lo
	s_delay_alu instid0(SALU_CYCLE_1)
	s_or_b32 s8, s8, s18
	s_or_b32 exec_lo, exec_lo, s19
	s_and_saveexec_b32 s18, s8
	s_cbranch_execnz .LBB4_152
	s_branch .LBB4_153
.LBB4_207:                              ;   in Loop: Header=BB4_85 Depth=2
	s_mov_b32 s8, -1
	s_mov_b32 s20, exec_lo
                                        ; implicit-def: $sgpr18
	v_cmpx_eq_u16_e64 0x80, v135
; %bb.208:                              ;   in Loop: Header=BB4_85 Depth=2
	s_mov_b32 s18, 0x7f800001
	s_xor_b32 s8, exec_lo, -1
; %bb.209:                              ;   in Loop: Header=BB4_85 Depth=2
	s_or_b32 exec_lo, exec_lo, s20
	s_delay_alu instid0(SALU_CYCLE_1)
	s_and_b32 s8, s8, exec_lo
                                        ; implicit-def: $vgpr135
	s_or_saveexec_b32 s19, s19
	v_mov_b32_e32 v134, s18
	s_xor_b32 exec_lo, exec_lo, s19
	s_cbranch_execz .LBB4_163
.LBB4_210:                              ;   in Loop: Header=BB4_85 Depth=2
	v_cmp_ne_u16_e64 vcc_lo, 0, v135
	v_mov_b32_e32 v134, 0
	s_and_not1_b32 s8, s8, exec_lo
	s_delay_alu instid0(VALU_DEP_2) | instskip(NEXT) | instid1(SALU_CYCLE_1)
	s_and_b32 s18, vcc_lo, exec_lo
	s_or_b32 s8, s8, s18
	s_or_b32 exec_lo, exec_lo, s19
	s_and_saveexec_b32 s18, s8
	s_cbranch_execnz .LBB4_164
	s_branch .LBB4_165
.LBB4_211:                              ;   in Loop: Header=BB4_85 Depth=2
	s_mov_b32 s8, -1
	s_mov_b32 s20, exec_lo
                                        ; implicit-def: $sgpr18
	v_cmpx_eq_u16_e64 0x80, v134
; %bb.212:                              ;   in Loop: Header=BB4_85 Depth=2
	s_mov_b32 s18, 0x7f800001
	s_xor_b32 s8, exec_lo, -1
; %bb.213:                              ;   in Loop: Header=BB4_85 Depth=2
	s_or_b32 exec_lo, exec_lo, s20
	s_delay_alu instid0(SALU_CYCLE_1)
	s_and_b32 s8, s8, exec_lo
	s_or_saveexec_b32 s19, s19
	v_mov_b32_e32 v135, s18
	s_xor_b32 exec_lo, exec_lo, s19
	s_cbranch_execz .LBB4_175
.LBB4_214:                              ;   in Loop: Header=BB4_85 Depth=2
	v_cmp_ne_u16_e64 vcc_lo, 0, v134
	v_mov_b32_e32 v135, 0
	s_and_not1_b32 s8, s8, exec_lo
	s_delay_alu instid0(VALU_DEP_2) | instskip(NEXT) | instid1(SALU_CYCLE_1)
	s_and_b32 s18, vcc_lo, exec_lo
	s_or_b32 s8, s8, s18
	s_or_b32 exec_lo, exec_lo, s19
	s_and_saveexec_b32 s18, s8
	s_cbranch_execnz .LBB4_176
	s_branch .LBB4_177
.LBB4_215:                              ;   in Loop: Header=BB4_40 Depth=1
	s_or_b32 exec_lo, exec_lo, s17
.LBB4_216:                              ;   in Loop: Header=BB4_40 Depth=1
	s_delay_alu instid0(SALU_CYCLE_1) | instskip(SKIP_2) | instid1(VALU_DEP_2)
	s_or_b32 exec_lo, exec_lo, s9
	v_and_b32_e32 v54, 0x7ffffff8, v21
	v_cmp_gt_i32_e64 s8, s14, v70
	v_cmp_eq_u64_e32 vcc_lo, 0x7ffffff8, v[54:55]
	s_delay_alu instid0(VALU_DEP_2) | instskip(NEXT) | instid1(SALU_CYCLE_1)
	s_and_b32 s8, vcc_lo, s8
	s_and_saveexec_b32 s9, s8
	s_cbranch_execz .LBB4_219
; %bb.217:                              ;   in Loop: Header=BB4_40 Depth=1
	v_dual_mov_b32 v54, v21 :: v_dual_and_b32 v17, 7, v21
	v_ashrrev_i32_e32 v71, 31, v70
	s_mov_b32 s17, 0
	s_delay_alu instid0(VALU_DEP_2) | instskip(SKIP_1) | instid1(VALU_DEP_2)
	v_mul_lo_u32 v17, v17, s14
	s_waitcnt vmcnt(0) lgkmcnt(0)
	v_lshlrev_b64 v[19:20], 4, v[70:71]
	s_delay_alu instid0(VALU_DEP_2) | instskip(NEXT) | instid1(VALU_DEP_1)
	v_ashrrev_i32_e32 v18, 31, v17
	v_lshlrev_b64 v[17:18], 4, v[17:18]
	s_delay_alu instid0(VALU_DEP_1) | instskip(NEXT) | instid1(VALU_DEP_2)
	v_add_co_u32 v19, vcc_lo, v19, v17
	v_add_co_ci_u32_e32 v20, vcc_lo, v20, v18, vcc_lo
	v_add_co_u32 v17, vcc_lo, 0, 0
	v_add_co_ci_u32_e32 v18, vcc_lo, 1, v54, vcc_lo
	s_delay_alu instid0(VALU_DEP_4) | instskip(NEXT) | instid1(VALU_DEP_4)
	v_add_co_u32 v80, vcc_lo, v38, v19
	v_add_co_ci_u32_e32 v81, vcc_lo, v39, v20, vcc_lo
.LBB4_218:                              ;   Parent Loop BB4_40 Depth=1
                                        ; =>  This Inner Loop Header: Depth=2
	s_delay_alu instid0(VALU_DEP_4) | instskip(NEXT) | instid1(VALU_DEP_4)
	v_dual_mov_b32 v19, v17 :: v_dual_add_nc_u32 v70, v70, v1
	v_mov_b32_e32 v20, v18
	s_delay_alu instid0(VALU_DEP_2) | instskip(SKIP_2) | instid1(VALU_DEP_1)
	v_cmp_le_i32_e32 vcc_lo, s14, v70
	global_store_b128 v[80:81], v[17:20], off
	v_add_co_u32 v80, s8, v80, v68
	v_add_co_ci_u32_e64 v81, s8, v81, v69, s8
	s_or_b32 s17, vcc_lo, s17
	s_delay_alu instid0(SALU_CYCLE_1)
	s_and_not1_b32 exec_lo, exec_lo, s17
	s_cbranch_execnz .LBB4_218
.LBB4_219:                              ;   in Loop: Header=BB4_40 Depth=1
	s_or_b32 exec_lo, exec_lo, s9
	v_add_co_u32 v134, vcc_lo, v9, v25
	v_add_co_ci_u32_e32 v135, vcc_lo, v10, v26, vcc_lo
	v_add_co_u32 v70, vcc_lo, v21, 1
	v_add_co_ci_u32_e32 v71, vcc_lo, 0, v22, vcc_lo
	s_and_not1_b32 vcc_lo, exec_lo, s16
	s_cbranch_vccnz .LBB4_631
; %bb.220:                              ;   in Loop: Header=BB4_40 Depth=1
	v_add_co_u32 v80, vcc_lo, v115, v134
	v_add_co_ci_u32_e32 v81, vcc_lo, v116, v135, vcc_lo
	v_add_nc_u16 v144, v21, 1
	s_mov_b32 s17, 2
.LBB4_221:                              ;   Parent Loop BB4_40 Depth=1
                                        ; =>  This Loop Header: Depth=2
                                        ;       Child Loop BB4_228 Depth 3
                                        ;       Child Loop BB4_248 Depth 3
	;; [unrolled: 1-line block ×3, first 2 shown]
                                        ;         Child Loop BB4_274 Depth 4
                                        ;       Child Loop BB4_612 Depth 3
                                        ;       Child Loop BB4_629 Depth 3
	s_delay_alu instid0(SALU_CYCLE_1) | instskip(NEXT) | instid1(SALU_CYCLE_1)
	s_sub_i32 s8, s10, s17
	s_ashr_i32 s9, s8, 31
	s_delay_alu instid0(SALU_CYCLE_1) | instskip(NEXT) | instid1(SALU_CYCLE_1)
	s_lshl_b64 s[8:9], s[8:9], 2
	v_add_co_u32 v17, vcc_lo, v23, s8
	v_add_co_ci_u32_e32 v18, vcc_lo, s9, v24, vcc_lo
	s_waitcnt vmcnt(0) lgkmcnt(0)
	flat_load_b32 v19, v[17:18]
	s_and_saveexec_b32 s8, s1
	s_cbranch_execz .LBB4_239
; %bb.222:                              ;   in Loop: Header=BB4_221 Depth=2
	v_add_co_u32 v17, vcc_lo, v15, 1
	v_add_co_ci_u32_e32 v18, vcc_lo, 0, v16, vcc_lo
	v_add_co_u32 v20, vcc_lo, v52, 8
	v_add_co_ci_u32_e32 v21, vcc_lo, 0, v53, vcc_lo
	s_mov_b32 s9, exec_lo
	s_delay_alu instid0(VALU_DEP_1)
	v_cmpx_lt_u64_e64 v[20:21], v[17:18]
	s_cbranch_execz .LBB4_236
; %bb.223:                              ;   in Loop: Header=BB4_221 Depth=2
	s_sleep 1
	flat_load_b64 v[52:53], v[50:51] glc
	v_cmp_eq_u32_e32 vcc_lo, 0, v131
	s_and_saveexec_b32 s18, vcc_lo
	s_cbranch_execz .LBB4_235
; %bb.224:                              ;   in Loop: Header=BB4_221 Depth=2
	v_cndmask_b32_e64 v16, 0, 1, vcc_lo
	s_mov_b32 s19, 0
                                        ; implicit-def: $sgpr20
	s_branch .LBB4_228
.LBB4_225:                              ;   in Loop: Header=BB4_228 Depth=3
	s_or_b32 exec_lo, exec_lo, s23
	s_delay_alu instid0(SALU_CYCLE_1)
	s_or_not1_b32 s23, s24, exec_lo
.LBB4_226:                              ;   in Loop: Header=BB4_228 Depth=3
	s_or_b32 exec_lo, exec_lo, s22
	s_xor_b32 s22, s23, -1
	s_and_not1_b32 s20, s20, exec_lo
	s_and_b32 s22, s22, exec_lo
	s_delay_alu instid0(SALU_CYCLE_1)
	s_or_b32 s20, s20, s22
.LBB4_227:                              ;   in Loop: Header=BB4_228 Depth=3
	s_or_b32 exec_lo, exec_lo, s21
	s_delay_alu instid0(SALU_CYCLE_1) | instskip(NEXT) | instid1(SALU_CYCLE_1)
	s_and_b32 s21, exec_lo, s20
	s_or_b32 s19, s21, s19
	s_delay_alu instid0(SALU_CYCLE_1)
	s_and_not1_b32 exec_lo, exec_lo, s19
	s_cbranch_execz .LBB4_234
.LBB4_228:                              ;   Parent Loop BB4_40 Depth=1
                                        ;     Parent Loop BB4_221 Depth=2
                                        ; =>    This Inner Loop Header: Depth=3
	s_waitcnt vmcnt(0) lgkmcnt(0)
	v_add_co_u32 v20, vcc_lo, v52, 8
	v_add_co_ci_u32_e32 v21, vcc_lo, 0, v53, vcc_lo
	v_mov_b32_e32 v131, 0
	s_or_b32 s20, s20, exec_lo
	s_mov_b32 s21, exec_lo
	s_delay_alu instid0(VALU_DEP_2)
	v_cmpx_lt_u64_e64 v[20:21], v[17:18]
	s_cbranch_execz .LBB4_227
; %bb.229:                              ;   in Loop: Header=BB4_228 Depth=3
	s_sleep 1
	flat_load_b64 v[52:53], v[50:51] glc
	v_dual_mov_b32 v131, 0 :: v_dual_add_nc_u32 v16, 1, v16
	s_mov_b32 s23, -1
	s_mov_b32 s22, exec_lo
	s_delay_alu instid0(VALU_DEP_1)
	v_cmpx_eq_u32_e32 0x2710, v16
	s_cbranch_execz .LBB4_226
; %bb.230:                              ;   in Loop: Header=BB4_228 Depth=3
	s_cbranch_execnz .LBB4_1037
; %bb.231:                              ;   in Loop: Header=BB4_228 Depth=3
	ds_load_b64 v[20:21], v0
	v_dual_mov_b32 v16, 0 :: v_dual_mov_b32 v131, 0
	s_mov_b32 s24, -1
	s_mov_b32 s23, exec_lo
	s_waitcnt vmcnt(0) lgkmcnt(0)
	s_waitcnt_vscnt null, 0x0
	flat_load_b32 v20, v[20:21] glc
	s_waitcnt vmcnt(0) lgkmcnt(0)
	buffer_gl1_inv
	buffer_gl0_inv
	v_cmpx_ne_u32_e32 0, v20
	s_cbranch_execz .LBB4_225
; %bb.232:                              ;   in Loop: Header=BB4_228 Depth=3
	ds_store_b32 v0, v20
	s_cbranch_execnz .LBB4_1064
; %bb.233:                              ;   in Loop: Header=BB4_228 Depth=3
	v_mov_b32_e32 v131, 1
	s_xor_b32 s24, exec_lo, -1
	s_branch .LBB4_225
.LBB4_234:                              ;   in Loop: Header=BB4_221 Depth=2
	s_or_b32 exec_lo, exec_lo, s19
.LBB4_235:                              ;   in Loop: Header=BB4_221 Depth=2
	s_delay_alu instid0(SALU_CYCLE_1)
	s_or_b32 exec_lo, exec_lo, s18
.LBB4_236:                              ;   in Loop: Header=BB4_221 Depth=2
	s_delay_alu instid0(SALU_CYCLE_1)
	s_or_b32 exec_lo, exec_lo, s9
	s_and_saveexec_b32 s9, s2
	s_cbranch_execz .LBB4_238
; %bb.237:                              ;   in Loop: Header=BB4_221 Depth=2
	v_and_b32_e32 v54, 0x7ffffff8, v15
	v_and_b32_e32 v16, 7, v15
	s_delay_alu instid0(VALU_DEP_2) | instskip(NEXT) | instid1(VALU_DEP_2)
	v_cmp_eq_u64_e32 vcc_lo, 0x7ffffff8, v[54:55]
	v_mad_u64_u32 v[20:21], null, v16, 24, v[13:14]
	v_cndmask_b32_e64 v15, v133, s11, vcc_lo
	s_delay_alu instid0(VALU_DEP_1)
	v_ashrrev_i32_e32 v16, 31, v15
	flat_store_b64 v[20:21], v[15:16] offset:8 dlc
	s_waitcnt_vscnt null, 0x0
.LBB4_238:                              ;   in Loop: Header=BB4_221 Depth=2
	s_or_b32 exec_lo, exec_lo, s9
	v_dual_mov_b32 v15, v17 :: v_dual_mov_b32 v16, v18
.LBB4_239:                              ;   in Loop: Header=BB4_221 Depth=2
	s_or_b32 exec_lo, exec_lo, s8
	s_and_saveexec_b32 s8, s3
	s_cbranch_execz .LBB4_261
; %bb.240:                              ;   in Loop: Header=BB4_221 Depth=2
	s_and_saveexec_b32 s9, s4
	s_delay_alu instid0(SALU_CYCLE_1)
	s_xor_b32 s9, exec_lo, s9
	s_cbranch_execz .LBB4_258
; %bb.241:                              ;   in Loop: Header=BB4_221 Depth=2
	s_and_saveexec_b32 s18, s5
	s_cbranch_execz .LBB4_257
; %bb.242:                              ;   in Loop: Header=BB4_221 Depth=2
	s_mov_b32 s20, exec_lo
	s_mov_b32 s19, exec_lo
	v_mbcnt_lo_u32_b32 v17, s20, 0
	s_waitcnt vmcnt(0) lgkmcnt(0)
	s_waitcnt_vscnt null, 0x0
	buffer_gl1_inv
	buffer_gl0_inv
	v_cmpx_eq_u32_e32 0, v17
	s_cbranch_execz .LBB4_244
; %bb.243:                              ;   in Loop: Header=BB4_221 Depth=2
	s_bcnt1_i32_b32 s20, s20
	s_delay_alu instid0(SALU_CYCLE_1)
	v_mov_b32_e32 v54, s20
	ds_add_u64 v0, v[54:55]
	s_cbranch_execnz .LBB4_1062
.LBB4_244:                              ;   in Loop: Header=BB4_221 Depth=2
	s_or_b32 exec_lo, exec_lo, s19
	s_cbranch_execnz .LBB4_1056
; %bb.245:                              ;   in Loop: Header=BB4_221 Depth=2
	ds_load_b64 v[17:18], v0
	v_add_co_u32 v2, vcc_lo, v2, v101
	v_add_co_ci_u32_e32 v3, vcc_lo, v3, v112, vcc_lo
	s_mov_b32 s19, exec_lo
	s_waitcnt lgkmcnt(0)
	s_delay_alu instid0(VALU_DEP_1)
	v_cmpx_lt_u64_e64 v[17:18], v[2:3]
	s_cbranch_execz .LBB4_256
; %bb.246:                              ;   in Loop: Header=BB4_221 Depth=2
	s_mov_b32 s20, 0
	s_mov_b32 s23, 0
                                        ; implicit-def: $sgpr21
                                        ; implicit-def: $sgpr22
	s_branch .LBB4_248
.LBB4_247:                              ;   in Loop: Header=BB4_248 Depth=3
	s_or_b32 exec_lo, exec_lo, s26
	s_delay_alu instid0(SALU_CYCLE_1) | instskip(NEXT) | instid1(SALU_CYCLE_1)
	s_and_b32 s24, exec_lo, s25
	s_or_b32 s20, s24, s20
	s_and_not1_b32 s21, s21, exec_lo
	s_and_b32 s24, s22, exec_lo
	s_delay_alu instid0(SALU_CYCLE_1)
	s_or_b32 s21, s21, s24
	s_and_not1_b32 exec_lo, exec_lo, s20
	s_cbranch_execz .LBB4_254
.LBB4_248:                              ;   Parent Loop BB4_40 Depth=1
                                        ;     Parent Loop BB4_221 Depth=2
                                        ; =>    This Inner Loop Header: Depth=3
	s_add_i32 s23, s23, 1
                                        ; implicit-def: $sgpr25
	s_delay_alu instid0(SALU_CYCLE_1) | instskip(SKIP_1) | instid1(SALU_CYCLE_1)
	s_cmpk_lg_i32 s23, 0x2710
	s_cselect_b32 s24, -1, 0
	s_and_b32 vcc_lo, exec_lo, s24
	s_cbranch_vccz .LBB4_252
.LBB4_249:                              ;   in Loop: Header=BB4_248 Depth=3
	s_and_not1_b32 s22, s22, exec_lo
	s_and_b32 s26, s25, exec_lo
	s_mov_b32 s25, -1
	s_or_b32 s22, s22, s26
	s_and_saveexec_b32 s26, s24
	s_cbranch_execz .LBB4_247
; %bb.250:                              ;   in Loop: Header=BB4_248 Depth=3
	s_sleep 1
	s_cbranch_execnz .LBB4_1080
; %bb.251:                              ;   in Loop: Header=BB4_248 Depth=3
	ds_load_b64 v[17:18], v0
	s_and_not1_b32 s22, s22, exec_lo
	s_waitcnt lgkmcnt(0)
	v_cmp_ge_u64_e32 vcc_lo, v[17:18], v[2:3]
	s_or_not1_b32 s25, vcc_lo, exec_lo
	s_branch .LBB4_247
.LBB4_252:                              ;   in Loop: Header=BB4_248 Depth=3
	s_cbranch_execnz .LBB4_1084
; %bb.253:                              ;   in Loop: Header=BB4_248 Depth=3
	ds_load_b64 v[17:18], v0
	s_and_not1_b32 s24, s24, exec_lo
	s_mov_b32 s23, 0
	s_mov_b32 s25, -1
	s_waitcnt lgkmcnt(0)
	flat_load_b32 v17, v[17:18] glc
	s_waitcnt vmcnt(0) lgkmcnt(0)
	buffer_gl1_inv
	buffer_gl0_inv
	v_cmp_eq_u32_e32 vcc_lo, 0, v17
	s_and_b32 s26, vcc_lo, exec_lo
	s_delay_alu instid0(SALU_CYCLE_1)
	s_or_b32 s24, s24, s26
	s_branch .LBB4_249
.LBB4_254:                              ;   in Loop: Header=BB4_221 Depth=2
	s_or_b32 exec_lo, exec_lo, s20
	s_and_saveexec_b32 s20, s21
	s_delay_alu instid0(SALU_CYCLE_1)
	s_xor_b32 s20, exec_lo, s20
	s_cbranch_execz .LBB4_256
; %bb.255:                              ;   in Loop: Header=BB4_221 Depth=2
	ds_store_b32 v0, v130
	s_cbranch_execnz .LBB4_1105
.LBB4_256:                              ;   in Loop: Header=BB4_221 Depth=2
	s_or_b32 exec_lo, exec_lo, s19
	;;#ASMSTART
	s_wakeup
	;;#ASMEND
.LBB4_257:                              ;   in Loop: Header=BB4_221 Depth=2
	s_or_b32 exec_lo, exec_lo, s18
.LBB4_258:                              ;   in Loop: Header=BB4_221 Depth=2
	s_and_not1_saveexec_b32 s9, s9
	s_cbranch_execz .LBB4_260
; %bb.259:                              ;   in Loop: Header=BB4_221 Depth=2
	s_waitcnt vmcnt(0) lgkmcnt(0)
	s_waitcnt_vscnt null, 0x0
	buffer_gl1_inv
	buffer_gl0_inv
	s_barrier
.LBB4_260:                              ;   in Loop: Header=BB4_221 Depth=2
	s_or_b32 exec_lo, exec_lo, s9
.LBB4_261:                              ;   in Loop: Header=BB4_221 Depth=2
	s_delay_alu instid0(SALU_CYCLE_1)
	s_or_b32 exec_lo, exec_lo, s8
	v_mov_b32_e32 v82, v4
	s_and_saveexec_b32 s18, s7
	s_cbranch_execz .LBB4_603
; %bb.262:                              ;   in Loop: Header=BB4_221 Depth=2
	v_dual_mov_b32 v82, v70 :: v_dual_and_b32 v17, 7, v32
	v_and_b32_e32 v18, 7, v70
	s_waitcnt vmcnt(0) lgkmcnt(0)
	v_ashrrev_i32_e32 v21, 31, v19
	v_mad_u64_u32 v[84:85], null, v99, v19, v[80:81]
	v_mul_lo_u32 v17, v17, s14
	v_mul_lo_u32 v20, v18, s14
	v_mul_lo_u32 v19, v100, v19
	v_mul_lo_u32 v22, v99, v21
	v_add_nc_u32_e32 v54, 1, v32
	v_mov_b32_e32 v150, v132
	s_mov_b32 s19, 0
	v_ashrrev_i32_e32 v18, 31, v17
	v_ashrrev_i32_e32 v21, 31, v20
	v_add3_u32 v85, v19, v85, v22
	s_delay_alu instid0(VALU_DEP_3) | instskip(NEXT) | instid1(VALU_DEP_3)
	v_lshlrev_b64 v[17:18], 4, v[17:18]
	v_lshlrev_b64 v[19:20], 4, v[20:21]
	s_delay_alu instid0(VALU_DEP_2) | instskip(NEXT) | instid1(VALU_DEP_3)
	v_add_co_u32 v145, vcc_lo, v29, v17
	v_add_co_ci_u32_e32 v146, vcc_lo, v30, v18, vcc_lo
	s_delay_alu instid0(VALU_DEP_3) | instskip(NEXT) | instid1(VALU_DEP_4)
	v_add_co_u32 v147, vcc_lo, v38, v19
	v_add_co_ci_u32_e32 v148, vcc_lo, v39, v20, vcc_lo
	v_add_co_u32 v149, vcc_lo, 0, 0
	v_add_co_ci_u32_e32 v18, vcc_lo, 1, v82, vcc_lo
	v_mov_b32_e32 v82, v4
	s_branch .LBB4_266
.LBB4_263:                              ;   in Loop: Header=BB4_266 Depth=3
	s_or_b32 exec_lo, exec_lo, s8
	s_delay_alu instid0(VALU_DEP_1) | instskip(NEXT) | instid1(VALU_DEP_2)
	v_lshrrev_b32_e32 v96, 20, v96
	v_cmp_gt_i32_e32 vcc_lo, 16, v83
	v_min_i32_e32 v161, 15, v83
	v_lshrrev_b32_e32 v21, 24, v21
	s_delay_alu instid0(VALU_DEP_2) | instskip(NEXT) | instid1(VALU_DEP_2)
	v_dual_cndmask_b32 v96, 7, v96 :: v_dual_lshlrev_b32 v161, 3, v161
	v_and_b32_e32 v21, 0x80, v21
	s_delay_alu instid0(VALU_DEP_2) | instskip(NEXT) | instid1(VALU_DEP_3)
	v_or_b32_e32 v83, v83, v96
	v_and_b32_e32 v161, 0xf8, v161
	s_delay_alu instid0(VALU_DEP_2) | instskip(SKIP_1) | instid1(VALU_DEP_1)
	v_cmp_ne_u32_e32 vcc_lo, 0, v83
	v_and_b32_e32 v162, 7, v96
	v_or3_b32 v21, v21, v161, v162
	s_delay_alu instid0(VALU_DEP_1) | instskip(NEXT) | instid1(VALU_DEP_1)
	v_lshlrev_b32_e32 v21, 8, v21
	v_cndmask_b32_e32 v83, 0, v21, vcc_lo
.LBB4_264:                              ;   in Loop: Header=BB4_266 Depth=3
	s_or_b32 exec_lo, exec_lo, s20
.LBB4_265:                              ;   in Loop: Header=BB4_266 Depth=3
	s_delay_alu instid0(SALU_CYCLE_1) | instskip(SKIP_4) | instid1(VALU_DEP_4)
	s_or_b32 exec_lo, exec_lo, s9
	v_and_b32_e32 v21, 0xff, v97
	v_lshlrev_b32_e32 v96, 8, v151
	v_or_b32_e32 v20, v83, v20
	v_add_co_u32 v84, vcc_lo, v84, v103
	v_lshlrev_b32_e32 v21, 16, v21
	v_sub_nc_u32_e32 v150, v150, v103
	v_add_co_ci_u32_e32 v85, vcc_lo, v85, v114, vcc_lo
	v_and_or_b32 v83, 0xff, v22, v160
	v_perm_b32 v17, v96, v17, 0xc0c0500
	v_lshl_or_b32 v19, v19, 24, v21
	v_lshlrev_b32_e32 v20, 16, v20
	v_add_co_u32 v21, vcc_lo, v147, v86
	v_add_co_ci_u32_e32 v22, vcc_lo, v148, v87, vcc_lo
	v_cmp_gt_i32_e32 vcc_lo, 1, v150
	v_or3_b32 v17, v19, v17, v149
	v_or3_b32 v19, v83, v20, v149
	v_mov_b32_e32 v20, v18
	v_add_nc_u32_e32 v82, v82, v1
	s_or_b32 s19, vcc_lo, s19
	global_store_b128 v[21:22], v[17:20], off
	s_and_not1_b32 exec_lo, exec_lo, s19
	s_cbranch_execz .LBB4_602
.LBB4_266:                              ;   Parent Loop BB4_40 Depth=1
                                        ;     Parent Loop BB4_221 Depth=2
                                        ; =>    This Loop Header: Depth=3
                                        ;         Child Loop BB4_274 Depth 4
	v_dual_mov_b32 v20, v85 :: v_dual_and_b32 v19, -4, v84
	v_min_u32_e32 v21, 8, v150
	v_dual_mov_b32 v161, 0 :: v_dual_and_b32 v22, 3, v84
	v_mov_b32_e32 v160, 0
	flat_load_b32 v17, v[19:20] glc
	v_add_co_u32 v21, s8, v22, v21
	s_delay_alu instid0(VALU_DEP_1) | instskip(SKIP_1) | instid1(VALU_DEP_1)
	v_add_co_ci_u32_e64 v22, null, 0, 0, s8
	s_mov_b32 s8, exec_lo
	v_cmpx_lt_u64_e32 4, v[21:22]
	s_cbranch_execz .LBB4_268
; %bb.267:                              ;   in Loop: Header=BB4_266 Depth=3
	flat_load_b32 v161, v[19:20] offset:4 glc
.LBB4_268:                              ;   in Loop: Header=BB4_266 Depth=3
	s_or_b32 exec_lo, exec_lo, s8
	s_delay_alu instid0(SALU_CYCLE_1)
	s_mov_b32 s8, exec_lo
	v_cmpx_lt_u64_e32 8, v[21:22]
	s_cbranch_execz .LBB4_270
; %bb.269:                              ;   in Loop: Header=BB4_266 Depth=3
	flat_load_b32 v160, v[19:20] offset:8 glc
.LBB4_270:                              ;   in Loop: Header=BB4_266 Depth=3
	s_or_b32 exec_lo, exec_lo, s8
	v_ashrrev_i32_e32 v83, 31, v82
	s_delay_alu instid0(VALU_DEP_1) | instskip(NEXT) | instid1(VALU_DEP_1)
	v_lshlrev_b64 v[86:87], 4, v[82:83]
	v_add_co_u32 v96, vcc_lo, v145, v86
	s_delay_alu instid0(VALU_DEP_2)
	v_add_co_ci_u32_e32 v97, vcc_lo, v146, v87, vcc_lo
	v_cmp_eq_u32_e32 vcc_lo, 0, v131
	;;#ASMSTART
	global_load_b128 v[19:22], v[96:97], off glc slc dlc
s_waitcnt vmcnt(0)

	;;#ASMEND
	s_and_saveexec_b32 s20, vcc_lo
	s_cbranch_execz .LBB4_284
; %bb.271:                              ;   in Loop: Header=BB4_266 Depth=3
	v_cmp_ne_u32_e64 s8, v54, v20
	v_cmp_ne_u32_e64 s9, v54, v22
	v_mov_b32_e32 v131, 0
	s_delay_alu instid0(VALU_DEP_2) | instskip(NEXT) | instid1(SALU_CYCLE_1)
	s_or_b32 s8, s8, s9
	s_and_saveexec_b32 s9, s8
	s_cbranch_execz .LBB4_283
; %bb.272:                              ;   in Loop: Header=BB4_266 Depth=3
	v_cndmask_b32_e64 v83, 0, 1, vcc_lo
	s_mov_b32 s21, 0
                                        ; implicit-def: $sgpr22
                                        ; implicit-def: $sgpr23
	s_branch .LBB4_274
.LBB4_273:                              ;   in Loop: Header=BB4_274 Depth=4
	s_or_b32 exec_lo, exec_lo, s24
	s_delay_alu instid0(SALU_CYCLE_1) | instskip(NEXT) | instid1(SALU_CYCLE_1)
	s_and_b32 s8, exec_lo, s8
	s_or_b32 s21, s8, s21
	s_and_not1_b32 s8, s22, exec_lo
	s_and_b32 s22, s23, exec_lo
	s_delay_alu instid0(SALU_CYCLE_1)
	s_or_b32 s22, s8, s22
	s_and_not1_b32 exec_lo, exec_lo, s21
	s_cbranch_execz .LBB4_282
.LBB4_274:                              ;   Parent Loop BB4_40 Depth=1
                                        ;     Parent Loop BB4_221 Depth=2
                                        ;       Parent Loop BB4_266 Depth=3
                                        ; =>      This Inner Loop Header: Depth=4
	s_delay_alu instid0(VALU_DEP_1)
	v_add_nc_u32_e32 v83, 1, v83
	v_mov_b32_e32 v131, 0
	s_mov_b32 s8, -1
	s_mov_b32 s25, -1
	s_mov_b32 s24, exec_lo
	;;#ASMSTART
	global_load_b128 v[19:22], v[96:97], off glc slc dlc
s_waitcnt vmcnt(0)

	;;#ASMEND
	v_cmpx_eq_u32_e32 0x2710, v83
	s_cbranch_execz .LBB4_280
; %bb.275:                              ;   in Loop: Header=BB4_274 Depth=4
	s_cbranch_execnz .LBB4_1031
; %bb.276:                              ;   in Loop: Header=BB4_274 Depth=4
	ds_load_b64 v[162:163], v0
	v_mov_b32_e32 v83, 0
	v_mov_b32_e32 v131, 0
	s_mov_b32 s26, -1
	s_mov_b32 s25, exec_lo
	s_waitcnt vmcnt(0) lgkmcnt(0)
	s_waitcnt_vscnt null, 0x0
	flat_load_b32 v151, v[162:163] glc
	s_waitcnt vmcnt(0) lgkmcnt(0)
	buffer_gl1_inv
	buffer_gl0_inv
	v_cmpx_ne_u32_e32 0, v151
	s_cbranch_execz .LBB4_279
; %bb.277:                              ;   in Loop: Header=BB4_274 Depth=4
	ds_store_b32 v0, v151
	s_cbranch_execnz .LBB4_1039
; %bb.278:                              ;   in Loop: Header=BB4_274 Depth=4
	v_mov_b32_e32 v131, 1
	s_xor_b32 s26, exec_lo, -1
.LBB4_279:                              ;   in Loop: Header=BB4_274 Depth=4
	s_or_b32 exec_lo, exec_lo, s25
	s_delay_alu instid0(SALU_CYCLE_1)
	s_or_not1_b32 s25, s26, exec_lo
.LBB4_280:                              ;   in Loop: Header=BB4_274 Depth=4
	s_or_b32 exec_lo, exec_lo, s24
	s_delay_alu instid0(SALU_CYCLE_1)
	s_or_b32 s23, s23, exec_lo
	s_and_saveexec_b32 s24, s25
	s_cbranch_execz .LBB4_273
; %bb.281:                              ;   in Loop: Header=BB4_274 Depth=4
	v_cmp_eq_u32_e32 vcc_lo, v54, v20
	v_cmp_eq_u32_e64 s8, v54, v22
	s_and_not1_b32 s23, s23, exec_lo
	s_delay_alu instid0(VALU_DEP_1) | instskip(NEXT) | instid1(SALU_CYCLE_1)
	s_and_b32 s8, vcc_lo, s8
	s_or_not1_b32 s8, s8, exec_lo
	s_branch .LBB4_273
.LBB4_282:                              ;   in Loop: Header=BB4_266 Depth=3
	s_or_b32 exec_lo, exec_lo, s21
	s_xor_b32 s8, s22, -1
	s_delay_alu instid0(SALU_CYCLE_1) | instskip(NEXT) | instid1(SALU_CYCLE_1)
	s_and_saveexec_b32 s21, s8
	s_xor_b32 s8, exec_lo, s21
	s_delay_alu instid0(SALU_CYCLE_1) | instskip(NEXT) | instid1(SALU_CYCLE_1)
	s_and_not1_saveexec_b32 s8, s8
	s_or_b32 exec_lo, exec_lo, s8
.LBB4_283:                              ;   in Loop: Header=BB4_266 Depth=3
	s_delay_alu instid0(SALU_CYCLE_1)
	s_or_b32 exec_lo, exec_lo, s9
.LBB4_284:                              ;   in Loop: Header=BB4_266 Depth=3
	s_delay_alu instid0(SALU_CYCLE_1) | instskip(SKIP_4) | instid1(VALU_DEP_1)
	s_or_b32 exec_lo, exec_lo, s20
	v_lshlrev_b32_e32 v20, 3, v84
	s_mov_b32 s8, 0
	s_mov_b32 s20, exec_lo
                                        ; implicit-def: $sgpr9
	s_waitcnt vmcnt(0) lgkmcnt(0)
	v_alignbit_b32 v22, v161, v17, v20
	s_delay_alu instid0(VALU_DEP_1) | instskip(NEXT) | instid1(VALU_DEP_1)
	v_and_b32_e32 v83, 0xff, v22
	v_cmpx_lt_i16_e32 0x7f, v83
	s_xor_b32 s20, exec_lo, s20
	s_cbranch_execnz .LBB4_506
; %bb.285:                              ;   in Loop: Header=BB4_266 Depth=3
	s_or_saveexec_b32 s20, s20
	v_mov_b32_e32 v17, s9
	s_xor_b32 exec_lo, exec_lo, s20
	s_cbranch_execnz .LBB4_509
.LBB4_286:                              ;   in Loop: Header=BB4_266 Depth=3
	s_or_b32 exec_lo, exec_lo, s20
	s_and_saveexec_b32 s9, s8
	s_cbranch_execz .LBB4_288
.LBB4_287:                              ;   in Loop: Header=BB4_266 Depth=3
	v_and_b32_e32 v17, 7, v22
	v_bfe_u32 v97, v22, 3, 4
	v_lshlrev_b32_e32 v151, 24, v22
	s_delay_alu instid0(VALU_DEP_3) | instskip(NEXT) | instid1(VALU_DEP_3)
	v_clz_i32_u32_e32 v83, v17
	v_cmp_eq_u32_e32 vcc_lo, 0, v97
	s_delay_alu instid0(VALU_DEP_2) | instskip(NEXT) | instid1(VALU_DEP_1)
	v_min_u32_e32 v83, 32, v83
	v_subrev_nc_u32_e32 v96, 28, v83
	v_sub_nc_u32_e32 v83, 29, v83
	s_delay_alu instid0(VALU_DEP_1) | instskip(NEXT) | instid1(VALU_DEP_1)
	v_dual_cndmask_b32 v83, v97, v83 :: v_dual_lshlrev_b32 v96, v96, v22
	v_and_b32_e32 v96, 7, v96
	s_delay_alu instid0(VALU_DEP_2) | instskip(NEXT) | instid1(VALU_DEP_2)
	v_lshl_add_u32 v83, v83, 23, 0x3b800000
	v_dual_cndmask_b32 v17, v17, v96 :: v_dual_and_b32 v96, 0x80000000, v151
	s_delay_alu instid0(VALU_DEP_1) | instskip(NEXT) | instid1(VALU_DEP_1)
	v_lshlrev_b32_e32 v17, 20, v17
	v_or3_b32 v17, v96, v83, v17
.LBB4_288:                              ;   in Loop: Header=BB4_266 Depth=3
	s_or_b32 exec_lo, exec_lo, s9
	s_delay_alu instid0(VALU_DEP_1) | instskip(NEXT) | instid1(VALU_DEP_1)
	v_mul_f32_e32 v83, v0, v17
	v_and_b32_e32 v17, 0x7f800000, v83
	s_delay_alu instid0(VALU_DEP_1)
	v_cmp_ne_u32_e32 vcc_lo, 0x7f800000, v17
	v_mov_b32_e32 v17, 0x80
	s_and_saveexec_b32 s9, vcc_lo
	s_cbranch_execz .LBB4_296
; %bb.289:                              ;   in Loop: Header=BB4_266 Depth=3
	v_mov_b32_e32 v17, 0
	s_mov_b32 s20, exec_lo
	v_cmpx_ne_u32_e32 0, v83
	s_cbranch_execz .LBB4_295
; %bb.290:                              ;   in Loop: Header=BB4_266 Depth=3
	v_bfe_u32 v17, v83, 23, 8
	s_delay_alu instid0(VALU_DEP_1) | instskip(SKIP_1) | instid1(VALU_DEP_2)
	v_sub_nc_u32_e32 v97, 0x78, v17
	v_cmp_gt_u32_e32 vcc_lo, 0x79, v17
	v_dual_cndmask_b32 v97, 0, v97 :: v_dual_and_b32 v96, 0x7fffff, v83
	s_delay_alu instid0(VALU_DEP_1) | instskip(SKIP_2) | instid1(VALU_DEP_4)
	v_or_b32_e32 v151, 0x800000, v96
	v_cmp_eq_u32_e32 vcc_lo, 0, v17
	v_add_nc_u32_e32 v17, 0xffffff89, v17
	v_cndmask_b32_e64 v97, v97, 0x77, vcc_lo
	s_delay_alu instid0(VALU_DEP_4) | instskip(NEXT) | instid1(VALU_DEP_3)
	v_cndmask_b32_e32 v96, v151, v96, vcc_lo
	v_cndmask_b32_e64 v17, v17, 0xffffff8a, vcc_lo
	s_delay_alu instid0(VALU_DEP_3) | instskip(NEXT) | instid1(VALU_DEP_3)
	v_lshl_add_u32 v151, 0x100000, v97, -1
	v_lshrrev_b32_e32 v162, v97, v96
	v_lshlrev_b32_e64 v164, v97, 0x80000
	s_delay_alu instid0(VALU_DEP_4) | instskip(NEXT) | instid1(VALU_DEP_4)
	v_add_nc_u32_e32 v97, v97, v17
	v_and_b32_e32 v96, v151, v96
	s_delay_alu instid0(VALU_DEP_4) | instskip(NEXT) | instid1(VALU_DEP_2)
	v_bfe_u32 v163, v162, 20, 1
	v_cmp_eq_u32_e64 s8, v96, v164
	s_delay_alu instid0(VALU_DEP_2) | instskip(NEXT) | instid1(VALU_DEP_1)
	v_add_nc_u32_e32 v151, -1, v163
	v_cndmask_b32_e64 v96, 0, v151, s8
	v_lshrrev_b32_e32 v151, 23, v162
	s_mov_b32 s8, exec_lo
	s_delay_alu instid0(VALU_DEP_2) | instskip(NEXT) | instid1(VALU_DEP_2)
	v_add_nc_u32_e32 v96, v96, v162
	v_xor_b32_e32 v151, 1, v151
	s_delay_alu instid0(VALU_DEP_2) | instskip(NEXT) | instid1(VALU_DEP_1)
	v_and_b32_e32 v17, 0xfffff, v96
	v_add_nc_u32_e32 v96, v17, v162
                                        ; implicit-def: $vgpr17
	s_delay_alu instid0(VALU_DEP_3)
	v_cmpx_ne_u32_e64 v97, v151
	s_xor_b32 s8, exec_lo, s8
; %bb.291:                              ;   in Loop: Header=BB4_266 Depth=3
	s_delay_alu instid0(VALU_DEP_2) | instskip(SKIP_2) | instid1(VALU_DEP_2)
	v_cmp_lt_u32_e32 vcc_lo, 0xffffff, v96
	v_sub_nc_u32_e32 v17, v97, v151
	v_cndmask_b32_e64 v97, 0, 1, vcc_lo
	v_add_co_ci_u32_e32 v17, vcc_lo, 0, v17, vcc_lo
	s_delay_alu instid0(VALU_DEP_2)
	v_lshrrev_b32_e32 v96, v97, v96
; %bb.292:                              ;   in Loop: Header=BB4_266 Depth=3
	s_and_not1_saveexec_b32 s8, s8
; %bb.293:                              ;   in Loop: Header=BB4_266 Depth=3
	s_delay_alu instid0(VALU_DEP_1)
	v_bfe_u32 v17, v96, 23, 1
; %bb.294:                              ;   in Loop: Header=BB4_266 Depth=3
	s_or_b32 exec_lo, exec_lo, s8
	v_lshrrev_b32_e32 v96, 20, v96
	s_delay_alu instid0(VALU_DEP_2) | instskip(SKIP_2) | instid1(VALU_DEP_2)
	v_cmp_gt_i32_e32 vcc_lo, 16, v17
	v_lshrrev_b32_e32 v83, 24, v83
	v_min_i32_e32 v97, 15, v17
	v_dual_cndmask_b32 v96, 7, v96 :: v_dual_and_b32 v83, 0x80, v83
	s_delay_alu instid0(VALU_DEP_2) | instskip(NEXT) | instid1(VALU_DEP_2)
	v_lshlrev_b32_e32 v97, 3, v97
	v_and_b32_e32 v151, 7, v96
	v_or_b32_e32 v17, v17, v96
	s_delay_alu instid0(VALU_DEP_2) | instskip(NEXT) | instid1(VALU_DEP_2)
	v_or3_b32 v83, v97, v83, v151
	v_cmp_ne_u32_e32 vcc_lo, 0, v17
	s_delay_alu instid0(VALU_DEP_2)
	v_cndmask_b32_e32 v17, 0, v83, vcc_lo
.LBB4_295:                              ;   in Loop: Header=BB4_266 Depth=3
	s_or_b32 exec_lo, exec_lo, s20
.LBB4_296:                              ;   in Loop: Header=BB4_266 Depth=3
	s_delay_alu instid0(SALU_CYCLE_1) | instskip(SKIP_3) | instid1(VALU_DEP_1)
	s_or_b32 exec_lo, exec_lo, s9
	v_lshrrev_b16 v83, 8, v22
	s_mov_b32 s8, 0
	s_mov_b32 s20, exec_lo
                                        ; implicit-def: $sgpr9
	v_cmpx_lt_i16_e32 0x7f, v83
	s_xor_b32 s20, exec_lo, s20
	s_cbranch_execnz .LBB4_510
; %bb.297:                              ;   in Loop: Header=BB4_266 Depth=3
	s_or_saveexec_b32 s20, s20
	v_mov_b32_e32 v96, s9
	s_xor_b32 exec_lo, exec_lo, s20
	s_cbranch_execnz .LBB4_513
.LBB4_298:                              ;   in Loop: Header=BB4_266 Depth=3
	s_or_b32 exec_lo, exec_lo, s20
	s_and_saveexec_b32 s9, s8
	s_cbranch_execz .LBB4_300
.LBB4_299:                              ;   in Loop: Header=BB4_266 Depth=3
	v_and_b32_e32 v96, 0xffff, v83
	v_lshlrev_b32_e32 v83, 24, v83
	s_delay_alu instid0(VALU_DEP_2) | instskip(NEXT) | instid1(VALU_DEP_2)
	v_and_b32_e32 v97, 7, v96
	v_and_b32_e32 v83, 0x80000000, v83
	s_delay_alu instid0(VALU_DEP_2) | instskip(NEXT) | instid1(VALU_DEP_1)
	v_clz_i32_u32_e32 v151, v97
	v_min_u32_e32 v151, 32, v151
	s_delay_alu instid0(VALU_DEP_1) | instskip(SKIP_1) | instid1(VALU_DEP_2)
	v_subrev_nc_u32_e32 v162, 28, v151
	v_sub_nc_u32_e32 v151, 29, v151
	v_lshlrev_b32_e32 v162, v162, v96
	v_bfe_u32 v96, v96, 3, 4
	s_delay_alu instid0(VALU_DEP_2) | instskip(NEXT) | instid1(VALU_DEP_2)
	v_and_b32_e32 v162, 7, v162
	v_cmp_eq_u32_e32 vcc_lo, 0, v96
	s_delay_alu instid0(VALU_DEP_2) | instskip(NEXT) | instid1(VALU_DEP_1)
	v_dual_cndmask_b32 v96, v96, v151 :: v_dual_cndmask_b32 v97, v97, v162
	v_lshl_add_u32 v96, v96, 23, 0x3b800000
	s_delay_alu instid0(VALU_DEP_2) | instskip(NEXT) | instid1(VALU_DEP_1)
	v_lshlrev_b32_e32 v97, 20, v97
	v_or3_b32 v96, v83, v96, v97
.LBB4_300:                              ;   in Loop: Header=BB4_266 Depth=3
	s_or_b32 exec_lo, exec_lo, s9
	s_delay_alu instid0(VALU_DEP_1) | instskip(SKIP_2) | instid1(VALU_DEP_2)
	v_mul_f32_e32 v83, v0, v96
	v_mov_b32_e32 v151, 0x80
	s_mov_b32 s9, exec_lo
	v_and_b32_e32 v96, 0x7f800000, v83
	s_delay_alu instid0(VALU_DEP_1)
	v_cmpx_ne_u32_e32 0x7f800000, v96
	s_cbranch_execz .LBB4_308
; %bb.301:                              ;   in Loop: Header=BB4_266 Depth=3
	v_mov_b32_e32 v151, 0
	s_mov_b32 s20, exec_lo
	v_cmpx_ne_u32_e32 0, v83
	s_cbranch_execz .LBB4_307
; %bb.302:                              ;   in Loop: Header=BB4_266 Depth=3
	v_bfe_u32 v96, v83, 23, 8
	v_and_b32_e32 v97, 0x7fffff, v83
	s_delay_alu instid0(VALU_DEP_2) | instskip(SKIP_1) | instid1(VALU_DEP_3)
	v_sub_nc_u32_e32 v151, 0x78, v96
	v_cmp_gt_u32_e32 vcc_lo, 0x79, v96
	v_or_b32_e32 v162, 0x800000, v97
	s_delay_alu instid0(VALU_DEP_3) | instskip(SKIP_2) | instid1(VALU_DEP_3)
	v_cndmask_b32_e32 v151, 0, v151, vcc_lo
	v_cmp_eq_u32_e32 vcc_lo, 0, v96
	v_add_nc_u32_e32 v96, 0xffffff89, v96
	v_cndmask_b32_e64 v151, v151, 0x77, vcc_lo
	v_cndmask_b32_e32 v97, v162, v97, vcc_lo
	s_delay_alu instid0(VALU_DEP_3) | instskip(NEXT) | instid1(VALU_DEP_3)
	v_cndmask_b32_e64 v96, v96, 0xffffff8a, vcc_lo
	v_lshl_add_u32 v162, 0x100000, v151, -1
	s_delay_alu instid0(VALU_DEP_3) | instskip(SKIP_1) | instid1(VALU_DEP_4)
	v_lshrrev_b32_e32 v163, v151, v97
	v_lshlrev_b32_e64 v165, v151, 0x80000
	v_add_nc_u32_e32 v151, v151, v96
	s_delay_alu instid0(VALU_DEP_4) | instskip(NEXT) | instid1(VALU_DEP_4)
	v_and_b32_e32 v97, v162, v97
	v_bfe_u32 v164, v163, 20, 1
	s_delay_alu instid0(VALU_DEP_2) | instskip(NEXT) | instid1(VALU_DEP_2)
	v_cmp_eq_u32_e64 s8, v97, v165
	v_add_nc_u32_e32 v162, -1, v164
	s_delay_alu instid0(VALU_DEP_1) | instskip(SKIP_2) | instid1(VALU_DEP_2)
	v_cndmask_b32_e64 v97, 0, v162, s8
	v_lshrrev_b32_e32 v162, 23, v163
	s_mov_b32 s8, exec_lo
	v_add_nc_u32_e32 v97, v97, v163
	s_delay_alu instid0(VALU_DEP_2) | instskip(NEXT) | instid1(VALU_DEP_2)
	v_xor_b32_e32 v162, 1, v162
	v_and_b32_e32 v96, 0xfffff, v97
	s_delay_alu instid0(VALU_DEP_1) | instskip(NEXT) | instid1(VALU_DEP_3)
	v_add_nc_u32_e32 v97, v96, v163
                                        ; implicit-def: $vgpr96
	v_cmpx_ne_u32_e64 v151, v162
	s_xor_b32 s8, exec_lo, s8
; %bb.303:                              ;   in Loop: Header=BB4_266 Depth=3
	s_delay_alu instid0(VALU_DEP_2) | instskip(SKIP_2) | instid1(VALU_DEP_2)
	v_cmp_lt_u32_e32 vcc_lo, 0xffffff, v97
	v_sub_nc_u32_e32 v96, v151, v162
	v_cndmask_b32_e64 v151, 0, 1, vcc_lo
	v_add_co_ci_u32_e32 v96, vcc_lo, 0, v96, vcc_lo
	s_delay_alu instid0(VALU_DEP_2)
	v_lshrrev_b32_e32 v97, v151, v97
; %bb.304:                              ;   in Loop: Header=BB4_266 Depth=3
	s_and_not1_saveexec_b32 s8, s8
; %bb.305:                              ;   in Loop: Header=BB4_266 Depth=3
	s_delay_alu instid0(VALU_DEP_1)
	v_bfe_u32 v96, v97, 23, 1
; %bb.306:                              ;   in Loop: Header=BB4_266 Depth=3
	s_or_b32 exec_lo, exec_lo, s8
	v_lshrrev_b32_e32 v97, 20, v97
	s_delay_alu instid0(VALU_DEP_2) | instskip(SKIP_2) | instid1(VALU_DEP_4)
	v_cmp_gt_i32_e32 vcc_lo, 16, v96
	v_lshrrev_b32_e32 v83, 24, v83
	v_min_i32_e32 v151, 15, v96
	v_cndmask_b32_e32 v97, 7, v97, vcc_lo
	s_delay_alu instid0(VALU_DEP_3) | instskip(NEXT) | instid1(VALU_DEP_3)
	v_and_b32_e32 v83, 0x80, v83
	v_lshlrev_b32_e32 v151, 3, v151
	s_delay_alu instid0(VALU_DEP_3) | instskip(NEXT) | instid1(VALU_DEP_1)
	v_or_b32_e32 v96, v96, v97
	v_cmp_ne_u32_e32 vcc_lo, 0, v96
	v_and_b32_e32 v162, 7, v97
	s_delay_alu instid0(VALU_DEP_1) | instskip(NEXT) | instid1(VALU_DEP_1)
	v_or3_b32 v83, v151, v83, v162
	v_cndmask_b32_e32 v151, 0, v83, vcc_lo
.LBB4_307:                              ;   in Loop: Header=BB4_266 Depth=3
	s_or_b32 exec_lo, exec_lo, s20
.LBB4_308:                              ;   in Loop: Header=BB4_266 Depth=3
	s_delay_alu instid0(SALU_CYCLE_1) | instskip(SKIP_3) | instid1(VALU_DEP_1)
	s_or_b32 exec_lo, exec_lo, s9
	v_lshrrev_b32_e32 v83, 16, v22
	s_mov_b32 s8, 0
	s_mov_b32 s20, exec_lo
                                        ; implicit-def: $sgpr9
	v_and_b32_e32 v97, 0xff, v83
	s_delay_alu instid0(VALU_DEP_1)
	v_cmpx_lt_i16_e32 0x7f, v97
	s_xor_b32 s20, exec_lo, s20
	s_cbranch_execnz .LBB4_514
; %bb.309:                              ;   in Loop: Header=BB4_266 Depth=3
	s_or_saveexec_b32 s20, s20
	v_mov_b32_e32 v96, s9
	s_xor_b32 exec_lo, exec_lo, s20
	s_cbranch_execnz .LBB4_517
.LBB4_310:                              ;   in Loop: Header=BB4_266 Depth=3
	s_or_b32 exec_lo, exec_lo, s20
	s_and_saveexec_b32 s9, s8
	s_cbranch_execz .LBB4_312
.LBB4_311:                              ;   in Loop: Header=BB4_266 Depth=3
	v_bfe_u32 v96, v22, 16, 3
	v_lshlrev_b32_e32 v163, 8, v22
	s_delay_alu instid0(VALU_DEP_2) | instskip(NEXT) | instid1(VALU_DEP_1)
	v_clz_i32_u32_e32 v97, v96
	v_min_u32_e32 v97, 32, v97
	s_delay_alu instid0(VALU_DEP_1) | instskip(SKIP_1) | instid1(VALU_DEP_2)
	v_subrev_nc_u32_e32 v162, 28, v97
	v_sub_nc_u32_e32 v97, 29, v97
	v_lshlrev_b32_e32 v83, v162, v83
	v_bfe_u32 v162, v22, 19, 4
	s_delay_alu instid0(VALU_DEP_2) | instskip(NEXT) | instid1(VALU_DEP_2)
	v_and_b32_e32 v83, 7, v83
	v_cmp_eq_u32_e32 vcc_lo, 0, v162
	v_cndmask_b32_e32 v97, v162, v97, vcc_lo
	s_delay_alu instid0(VALU_DEP_3) | instskip(SKIP_1) | instid1(VALU_DEP_3)
	v_cndmask_b32_e32 v83, v96, v83, vcc_lo
	v_and_b32_e32 v96, 0x80000000, v163
	v_lshl_add_u32 v97, v97, 23, 0x3b800000
	s_delay_alu instid0(VALU_DEP_3) | instskip(NEXT) | instid1(VALU_DEP_1)
	v_lshlrev_b32_e32 v83, 20, v83
	v_or3_b32 v96, v96, v97, v83
.LBB4_312:                              ;   in Loop: Header=BB4_266 Depth=3
	s_or_b32 exec_lo, exec_lo, s9
	s_delay_alu instid0(VALU_DEP_1) | instskip(SKIP_2) | instid1(VALU_DEP_2)
	v_mul_f32_e32 v83, v0, v96
	v_mov_b32_e32 v97, 0x80
	s_mov_b32 s9, exec_lo
	v_and_b32_e32 v96, 0x7f800000, v83
	s_delay_alu instid0(VALU_DEP_1)
	v_cmpx_ne_u32_e32 0x7f800000, v96
	s_cbranch_execz .LBB4_320
; %bb.313:                              ;   in Loop: Header=BB4_266 Depth=3
	v_mov_b32_e32 v97, 0
	s_mov_b32 s20, exec_lo
	v_cmpx_ne_u32_e32 0, v83
	s_cbranch_execz .LBB4_319
; %bb.314:                              ;   in Loop: Header=BB4_266 Depth=3
	v_bfe_u32 v96, v83, 23, 8
	s_delay_alu instid0(VALU_DEP_1) | instskip(SKIP_1) | instid1(VALU_DEP_2)
	v_sub_nc_u32_e32 v162, 0x78, v96
	v_cmp_gt_u32_e32 vcc_lo, 0x79, v96
	v_dual_cndmask_b32 v162, 0, v162 :: v_dual_and_b32 v97, 0x7fffff, v83
	s_delay_alu instid0(VALU_DEP_1) | instskip(SKIP_2) | instid1(VALU_DEP_4)
	v_or_b32_e32 v163, 0x800000, v97
	v_cmp_eq_u32_e32 vcc_lo, 0, v96
	v_add_nc_u32_e32 v96, 0xffffff89, v96
	v_cndmask_b32_e64 v162, v162, 0x77, vcc_lo
	s_delay_alu instid0(VALU_DEP_4) | instskip(NEXT) | instid1(VALU_DEP_3)
	v_cndmask_b32_e32 v97, v163, v97, vcc_lo
	v_cndmask_b32_e64 v96, v96, 0xffffff8a, vcc_lo
	s_delay_alu instid0(VALU_DEP_3) | instskip(NEXT) | instid1(VALU_DEP_3)
	v_lshl_add_u32 v163, 0x100000, v162, -1
	v_lshrrev_b32_e32 v164, v162, v97
	v_lshlrev_b32_e64 v166, v162, 0x80000
	s_delay_alu instid0(VALU_DEP_4) | instskip(NEXT) | instid1(VALU_DEP_4)
	v_add_nc_u32_e32 v162, v162, v96
	v_and_b32_e32 v97, v163, v97
	s_delay_alu instid0(VALU_DEP_4) | instskip(NEXT) | instid1(VALU_DEP_2)
	v_bfe_u32 v165, v164, 20, 1
	v_cmp_eq_u32_e64 s8, v97, v166
	s_delay_alu instid0(VALU_DEP_2) | instskip(NEXT) | instid1(VALU_DEP_1)
	v_add_nc_u32_e32 v163, -1, v165
	v_cndmask_b32_e64 v97, 0, v163, s8
	v_lshrrev_b32_e32 v163, 23, v164
	s_mov_b32 s8, exec_lo
	s_delay_alu instid0(VALU_DEP_2) | instskip(NEXT) | instid1(VALU_DEP_2)
	v_add_nc_u32_e32 v97, v97, v164
	v_xor_b32_e32 v163, 1, v163
	s_delay_alu instid0(VALU_DEP_2) | instskip(NEXT) | instid1(VALU_DEP_1)
	v_and_b32_e32 v96, 0xfffff, v97
	v_add_nc_u32_e32 v97, v96, v164
                                        ; implicit-def: $vgpr96
	s_delay_alu instid0(VALU_DEP_3)
	v_cmpx_ne_u32_e64 v162, v163
	s_xor_b32 s8, exec_lo, s8
; %bb.315:                              ;   in Loop: Header=BB4_266 Depth=3
	s_delay_alu instid0(VALU_DEP_2) | instskip(SKIP_2) | instid1(VALU_DEP_2)
	v_cmp_lt_u32_e32 vcc_lo, 0xffffff, v97
	v_sub_nc_u32_e32 v96, v162, v163
	v_cndmask_b32_e64 v162, 0, 1, vcc_lo
	v_add_co_ci_u32_e32 v96, vcc_lo, 0, v96, vcc_lo
	s_delay_alu instid0(VALU_DEP_2)
	v_lshrrev_b32_e32 v97, v162, v97
; %bb.316:                              ;   in Loop: Header=BB4_266 Depth=3
	s_and_not1_saveexec_b32 s8, s8
; %bb.317:                              ;   in Loop: Header=BB4_266 Depth=3
	s_delay_alu instid0(VALU_DEP_1)
	v_bfe_u32 v96, v97, 23, 1
; %bb.318:                              ;   in Loop: Header=BB4_266 Depth=3
	s_or_b32 exec_lo, exec_lo, s8
	v_lshrrev_b32_e32 v97, 20, v97
	s_delay_alu instid0(VALU_DEP_2) | instskip(SKIP_2) | instid1(VALU_DEP_4)
	v_cmp_gt_i32_e32 vcc_lo, 16, v96
	v_lshrrev_b32_e32 v83, 24, v83
	v_min_i32_e32 v162, 15, v96
	v_cndmask_b32_e32 v97, 7, v97, vcc_lo
	s_delay_alu instid0(VALU_DEP_3) | instskip(NEXT) | instid1(VALU_DEP_3)
	v_and_b32_e32 v83, 0x80, v83
	v_lshlrev_b32_e32 v162, 3, v162
	s_delay_alu instid0(VALU_DEP_3) | instskip(SKIP_1) | instid1(VALU_DEP_2)
	v_and_b32_e32 v163, 7, v97
	v_or_b32_e32 v96, v96, v97
	v_or3_b32 v83, v162, v83, v163
	s_delay_alu instid0(VALU_DEP_2) | instskip(NEXT) | instid1(VALU_DEP_2)
	v_cmp_ne_u32_e32 vcc_lo, 0, v96
	v_cndmask_b32_e32 v97, 0, v83, vcc_lo
.LBB4_319:                              ;   in Loop: Header=BB4_266 Depth=3
	s_or_b32 exec_lo, exec_lo, s20
.LBB4_320:                              ;   in Loop: Header=BB4_266 Depth=3
	s_delay_alu instid0(SALU_CYCLE_1) | instskip(SKIP_3) | instid1(VALU_DEP_1)
	s_or_b32 exec_lo, exec_lo, s9
	v_lshrrev_b32_e32 v83, 24, v22
	s_mov_b32 s8, 0
	s_mov_b32 s20, exec_lo
                                        ; implicit-def: $sgpr9
	v_cmpx_lt_i16_e32 0x7f, v83
	s_xor_b32 s20, exec_lo, s20
	s_cbranch_execnz .LBB4_518
; %bb.321:                              ;   in Loop: Header=BB4_266 Depth=3
	s_or_saveexec_b32 s20, s20
	v_mov_b32_e32 v96, s9
	s_xor_b32 exec_lo, exec_lo, s20
	s_cbranch_execnz .LBB4_521
.LBB4_322:                              ;   in Loop: Header=BB4_266 Depth=3
	s_or_b32 exec_lo, exec_lo, s20
	s_and_saveexec_b32 s9, s8
	s_cbranch_execz .LBB4_324
.LBB4_323:                              ;   in Loop: Header=BB4_266 Depth=3
	v_bfe_u32 v96, v22, 24, 3
	s_delay_alu instid0(VALU_DEP_1) | instskip(NEXT) | instid1(VALU_DEP_1)
	v_clz_i32_u32_e32 v162, v96
	v_min_u32_e32 v162, 32, v162
	s_delay_alu instid0(VALU_DEP_1) | instskip(SKIP_1) | instid1(VALU_DEP_2)
	v_subrev_nc_u32_e32 v163, 28, v162
	v_sub_nc_u32_e32 v162, 29, v162
	v_lshlrev_b32_e32 v83, v163, v83
	v_bfe_u32 v163, v22, 27, 4
	v_and_b32_e32 v22, 0x80000000, v22
	s_delay_alu instid0(VALU_DEP_2) | instskip(NEXT) | instid1(VALU_DEP_4)
	v_cmp_eq_u32_e32 vcc_lo, 0, v163
	v_dual_cndmask_b32 v162, v163, v162 :: v_dual_and_b32 v83, 7, v83
	s_delay_alu instid0(VALU_DEP_1) | instskip(NEXT) | instid1(VALU_DEP_2)
	v_cndmask_b32_e32 v83, v96, v83, vcc_lo
	v_lshl_add_u32 v96, v162, 23, 0x3b800000
	s_delay_alu instid0(VALU_DEP_2) | instskip(NEXT) | instid1(VALU_DEP_1)
	v_lshlrev_b32_e32 v83, 20, v83
	v_or3_b32 v96, v22, v96, v83
.LBB4_324:                              ;   in Loop: Header=BB4_266 Depth=3
	s_or_b32 exec_lo, exec_lo, s9
	s_delay_alu instid0(VALU_DEP_1) | instskip(SKIP_2) | instid1(VALU_DEP_2)
	v_mul_f32_e32 v22, v0, v96
	v_mov_b32_e32 v96, 0x80
	s_mov_b32 s9, exec_lo
	v_and_b32_e32 v83, 0x7f800000, v22
	s_delay_alu instid0(VALU_DEP_1)
	v_cmpx_ne_u32_e32 0x7f800000, v83
	s_cbranch_execz .LBB4_332
; %bb.325:                              ;   in Loop: Header=BB4_266 Depth=3
	v_mov_b32_e32 v96, 0
	s_mov_b32 s20, exec_lo
	v_cmpx_ne_u32_e32 0, v22
	s_cbranch_execz .LBB4_331
; %bb.326:                              ;   in Loop: Header=BB4_266 Depth=3
	v_bfe_u32 v83, v22, 23, 8
	v_and_b32_e32 v96, 0x7fffff, v22
	s_delay_alu instid0(VALU_DEP_2) | instskip(SKIP_1) | instid1(VALU_DEP_3)
	v_sub_nc_u32_e32 v162, 0x78, v83
	v_cmp_gt_u32_e32 vcc_lo, 0x79, v83
	v_or_b32_e32 v163, 0x800000, v96
	s_delay_alu instid0(VALU_DEP_3) | instskip(SKIP_2) | instid1(VALU_DEP_3)
	v_cndmask_b32_e32 v162, 0, v162, vcc_lo
	v_cmp_eq_u32_e32 vcc_lo, 0, v83
	v_add_nc_u32_e32 v83, 0xffffff89, v83
	v_cndmask_b32_e64 v162, v162, 0x77, vcc_lo
	v_cndmask_b32_e32 v96, v163, v96, vcc_lo
	s_delay_alu instid0(VALU_DEP_3) | instskip(NEXT) | instid1(VALU_DEP_3)
	v_cndmask_b32_e64 v83, v83, 0xffffff8a, vcc_lo
	v_lshl_add_u32 v163, 0x100000, v162, -1
	s_delay_alu instid0(VALU_DEP_3) | instskip(SKIP_1) | instid1(VALU_DEP_4)
	v_lshrrev_b32_e32 v164, v162, v96
	v_lshlrev_b32_e64 v166, v162, 0x80000
	v_add_nc_u32_e32 v162, v162, v83
	s_delay_alu instid0(VALU_DEP_4) | instskip(NEXT) | instid1(VALU_DEP_4)
	v_and_b32_e32 v96, v163, v96
	v_bfe_u32 v165, v164, 20, 1
	s_delay_alu instid0(VALU_DEP_2) | instskip(NEXT) | instid1(VALU_DEP_2)
	v_cmp_eq_u32_e64 s8, v96, v166
	v_add_nc_u32_e32 v163, -1, v165
	s_delay_alu instid0(VALU_DEP_1) | instskip(SKIP_2) | instid1(VALU_DEP_2)
	v_cndmask_b32_e64 v96, 0, v163, s8
	v_lshrrev_b32_e32 v163, 23, v164
	s_mov_b32 s8, exec_lo
	v_add_nc_u32_e32 v96, v96, v164
	s_delay_alu instid0(VALU_DEP_2) | instskip(NEXT) | instid1(VALU_DEP_2)
	v_xor_b32_e32 v163, 1, v163
	v_and_b32_e32 v83, 0xfffff, v96
	s_delay_alu instid0(VALU_DEP_1) | instskip(NEXT) | instid1(VALU_DEP_3)
	v_add_nc_u32_e32 v96, v83, v164
                                        ; implicit-def: $vgpr83
	v_cmpx_ne_u32_e64 v162, v163
	s_xor_b32 s8, exec_lo, s8
; %bb.327:                              ;   in Loop: Header=BB4_266 Depth=3
	s_delay_alu instid0(VALU_DEP_2) | instskip(SKIP_2) | instid1(VALU_DEP_2)
	v_cmp_lt_u32_e32 vcc_lo, 0xffffff, v96
	v_sub_nc_u32_e32 v83, v162, v163
	v_cndmask_b32_e64 v162, 0, 1, vcc_lo
	v_add_co_ci_u32_e32 v83, vcc_lo, 0, v83, vcc_lo
	s_delay_alu instid0(VALU_DEP_2)
	v_lshrrev_b32_e32 v96, v162, v96
; %bb.328:                              ;   in Loop: Header=BB4_266 Depth=3
	s_and_not1_saveexec_b32 s8, s8
; %bb.329:                              ;   in Loop: Header=BB4_266 Depth=3
	s_delay_alu instid0(VALU_DEP_1)
	v_bfe_u32 v83, v96, 23, 1
; %bb.330:                              ;   in Loop: Header=BB4_266 Depth=3
	s_or_b32 exec_lo, exec_lo, s8
	v_lshrrev_b32_e32 v96, 20, v96
	s_delay_alu instid0(VALU_DEP_2) | instskip(SKIP_2) | instid1(VALU_DEP_4)
	v_cmp_gt_i32_e32 vcc_lo, 16, v83
	v_lshrrev_b32_e32 v22, 24, v22
	v_min_i32_e32 v162, 15, v83
	v_cndmask_b32_e32 v96, 7, v96, vcc_lo
	s_delay_alu instid0(VALU_DEP_3) | instskip(NEXT) | instid1(VALU_DEP_3)
	v_and_b32_e32 v22, 0x80, v22
	v_lshlrev_b32_e32 v162, 3, v162
	s_delay_alu instid0(VALU_DEP_3) | instskip(NEXT) | instid1(VALU_DEP_1)
	v_or_b32_e32 v83, v83, v96
	v_cmp_ne_u32_e32 vcc_lo, 0, v83
	v_and_b32_e32 v163, 7, v96
	s_delay_alu instid0(VALU_DEP_1) | instskip(NEXT) | instid1(VALU_DEP_1)
	v_or3_b32 v22, v162, v22, v163
	v_cndmask_b32_e32 v96, 0, v22, vcc_lo
.LBB4_331:                              ;   in Loop: Header=BB4_266 Depth=3
	s_or_b32 exec_lo, exec_lo, s20
.LBB4_332:                              ;   in Loop: Header=BB4_266 Depth=3
	s_delay_alu instid0(SALU_CYCLE_1) | instskip(SKIP_3) | instid1(VALU_DEP_1)
	s_or_b32 exec_lo, exec_lo, s9
	v_alignbit_b32 v83, v160, v161, v20
	s_mov_b32 s8, 0
	s_mov_b32 s20, exec_lo
                                        ; implicit-def: $sgpr9
	v_and_b32_e32 v22, 0xff, v83
	s_delay_alu instid0(VALU_DEP_1)
	v_cmpx_lt_i16_e32 0x7f, v22
	s_xor_b32 s20, exec_lo, s20
	s_cbranch_execnz .LBB4_522
; %bb.333:                              ;   in Loop: Header=BB4_266 Depth=3
	s_or_saveexec_b32 s20, s20
	v_mov_b32_e32 v20, s9
	s_xor_b32 exec_lo, exec_lo, s20
	s_cbranch_execnz .LBB4_525
.LBB4_334:                              ;   in Loop: Header=BB4_266 Depth=3
	s_or_b32 exec_lo, exec_lo, s20
	s_and_saveexec_b32 s9, s8
	s_cbranch_execz .LBB4_336
.LBB4_335:                              ;   in Loop: Header=BB4_266 Depth=3
	v_and_b32_e32 v20, 7, v83
	v_bfe_u32 v161, v83, 3, 4
	v_lshlrev_b32_e32 v162, 24, v83
	s_delay_alu instid0(VALU_DEP_3) | instskip(NEXT) | instid1(VALU_DEP_3)
	v_clz_i32_u32_e32 v22, v20
	v_cmp_eq_u32_e32 vcc_lo, 0, v161
	s_delay_alu instid0(VALU_DEP_2) | instskip(NEXT) | instid1(VALU_DEP_1)
	v_min_u32_e32 v22, 32, v22
	v_subrev_nc_u32_e32 v160, 28, v22
	v_sub_nc_u32_e32 v22, 29, v22
	s_delay_alu instid0(VALU_DEP_2) | instskip(NEXT) | instid1(VALU_DEP_2)
	v_lshlrev_b32_e32 v160, v160, v83
	v_cndmask_b32_e32 v22, v161, v22, vcc_lo
	s_delay_alu instid0(VALU_DEP_2) | instskip(NEXT) | instid1(VALU_DEP_2)
	v_and_b32_e32 v160, 7, v160
	v_lshl_add_u32 v22, v22, 23, 0x3b800000
	s_delay_alu instid0(VALU_DEP_2) | instskip(SKIP_1) | instid1(VALU_DEP_2)
	v_cndmask_b32_e32 v20, v20, v160, vcc_lo
	v_and_b32_e32 v160, 0x80000000, v162
	v_lshlrev_b32_e32 v20, 20, v20
	s_delay_alu instid0(VALU_DEP_1)
	v_or3_b32 v20, v160, v22, v20
.LBB4_336:                              ;   in Loop: Header=BB4_266 Depth=3
	s_or_b32 exec_lo, exec_lo, s9
	s_delay_alu instid0(VALU_DEP_1) | instskip(NEXT) | instid1(VALU_DEP_1)
	v_mul_f32_e32 v20, v0, v20
	v_and_b32_e32 v22, 0x7f800000, v20
	s_delay_alu instid0(VALU_DEP_1)
	v_cmp_ne_u32_e32 vcc_lo, 0x7f800000, v22
	v_mov_b32_e32 v22, 0x80
	s_and_saveexec_b32 s9, vcc_lo
	s_cbranch_execz .LBB4_344
; %bb.337:                              ;   in Loop: Header=BB4_266 Depth=3
	v_mov_b32_e32 v22, 0
	s_mov_b32 s20, exec_lo
	v_cmpx_ne_u32_e32 0, v20
	s_cbranch_execz .LBB4_343
; %bb.338:                              ;   in Loop: Header=BB4_266 Depth=3
	v_bfe_u32 v22, v20, 23, 8
	s_delay_alu instid0(VALU_DEP_1) | instskip(SKIP_1) | instid1(VALU_DEP_2)
	v_sub_nc_u32_e32 v161, 0x78, v22
	v_cmp_gt_u32_e32 vcc_lo, 0x79, v22
	v_dual_cndmask_b32 v161, 0, v161 :: v_dual_and_b32 v160, 0x7fffff, v20
	s_delay_alu instid0(VALU_DEP_1) | instskip(SKIP_2) | instid1(VALU_DEP_4)
	v_or_b32_e32 v162, 0x800000, v160
	v_cmp_eq_u32_e32 vcc_lo, 0, v22
	v_add_nc_u32_e32 v22, 0xffffff89, v22
	v_cndmask_b32_e64 v161, v161, 0x77, vcc_lo
	s_delay_alu instid0(VALU_DEP_2) | instskip(SKIP_1) | instid1(VALU_DEP_3)
	v_cndmask_b32_e64 v22, v22, 0xffffff8a, vcc_lo
	v_cndmask_b32_e32 v160, v162, v160, vcc_lo
	v_lshl_add_u32 v162, 0x100000, v161, -1
	v_lshlrev_b32_e64 v165, v161, 0x80000
	s_delay_alu instid0(VALU_DEP_3) | instskip(SKIP_1) | instid1(VALU_DEP_4)
	v_lshrrev_b32_e32 v163, v161, v160
	v_add_nc_u32_e32 v161, v161, v22
	v_and_b32_e32 v160, v162, v160
	s_delay_alu instid0(VALU_DEP_3) | instskip(NEXT) | instid1(VALU_DEP_2)
	v_bfe_u32 v164, v163, 20, 1
	v_cmp_eq_u32_e64 s8, v160, v165
	s_delay_alu instid0(VALU_DEP_2) | instskip(NEXT) | instid1(VALU_DEP_1)
	v_add_nc_u32_e32 v162, -1, v164
	v_cndmask_b32_e64 v160, 0, v162, s8
	v_lshrrev_b32_e32 v162, 23, v163
	s_mov_b32 s8, exec_lo
	s_delay_alu instid0(VALU_DEP_2) | instskip(NEXT) | instid1(VALU_DEP_2)
	v_add_nc_u32_e32 v160, v160, v163
	v_xor_b32_e32 v162, 1, v162
	s_delay_alu instid0(VALU_DEP_2) | instskip(NEXT) | instid1(VALU_DEP_1)
	v_and_b32_e32 v22, 0xfffff, v160
	v_add_nc_u32_e32 v160, v22, v163
                                        ; implicit-def: $vgpr22
	s_delay_alu instid0(VALU_DEP_3)
	v_cmpx_ne_u32_e64 v161, v162
	s_xor_b32 s8, exec_lo, s8
; %bb.339:                              ;   in Loop: Header=BB4_266 Depth=3
	s_delay_alu instid0(VALU_DEP_2) | instskip(SKIP_2) | instid1(VALU_DEP_2)
	v_cmp_lt_u32_e32 vcc_lo, 0xffffff, v160
	v_sub_nc_u32_e32 v22, v161, v162
	v_cndmask_b32_e64 v161, 0, 1, vcc_lo
	v_add_co_ci_u32_e32 v22, vcc_lo, 0, v22, vcc_lo
	s_delay_alu instid0(VALU_DEP_2)
	v_lshrrev_b32_e32 v160, v161, v160
; %bb.340:                              ;   in Loop: Header=BB4_266 Depth=3
	s_and_not1_saveexec_b32 s8, s8
; %bb.341:                              ;   in Loop: Header=BB4_266 Depth=3
	s_delay_alu instid0(VALU_DEP_1)
	v_bfe_u32 v22, v160, 23, 1
; %bb.342:                              ;   in Loop: Header=BB4_266 Depth=3
	s_or_b32 exec_lo, exec_lo, s8
	v_lshrrev_b32_e32 v160, 20, v160
	s_delay_alu instid0(VALU_DEP_2) | instskip(SKIP_2) | instid1(VALU_DEP_2)
	v_cmp_gt_i32_e32 vcc_lo, 16, v22
	v_min_i32_e32 v161, 15, v22
	v_lshrrev_b32_e32 v20, 24, v20
	v_dual_cndmask_b32 v160, 7, v160 :: v_dual_lshlrev_b32 v161, 3, v161
	s_delay_alu instid0(VALU_DEP_2) | instskip(NEXT) | instid1(VALU_DEP_2)
	v_and_b32_e32 v20, 0x80, v20
	v_or_b32_e32 v22, v22, v160
	v_and_b32_e32 v162, 7, v160
	s_delay_alu instid0(VALU_DEP_2) | instskip(SKIP_1) | instid1(VALU_DEP_1)
	v_cmp_ne_u32_e32 vcc_lo, 0, v22
	v_and_b32_e32 v161, 0xf8, v161
	v_or3_b32 v20, v161, v20, v162
	s_delay_alu instid0(VALU_DEP_1)
	v_cndmask_b32_e32 v22, 0, v20, vcc_lo
.LBB4_343:                              ;   in Loop: Header=BB4_266 Depth=3
	s_or_b32 exec_lo, exec_lo, s20
.LBB4_344:                              ;   in Loop: Header=BB4_266 Depth=3
	s_delay_alu instid0(SALU_CYCLE_1) | instskip(SKIP_3) | instid1(VALU_DEP_1)
	s_or_b32 exec_lo, exec_lo, s9
	v_lshrrev_b16 v20, 8, v83
	s_mov_b32 s8, 0
	s_mov_b32 s20, exec_lo
                                        ; implicit-def: $sgpr9
	v_cmpx_lt_i16_e32 0x7f, v20
	s_xor_b32 s20, exec_lo, s20
	s_cbranch_execnz .LBB4_526
; %bb.345:                              ;   in Loop: Header=BB4_266 Depth=3
	s_or_saveexec_b32 s20, s20
	v_mov_b32_e32 v160, s9
	s_xor_b32 exec_lo, exec_lo, s20
	s_cbranch_execnz .LBB4_529
.LBB4_346:                              ;   in Loop: Header=BB4_266 Depth=3
	s_or_b32 exec_lo, exec_lo, s20
	s_and_saveexec_b32 s9, s8
	s_cbranch_execz .LBB4_348
.LBB4_347:                              ;   in Loop: Header=BB4_266 Depth=3
	v_and_b32_e32 v160, 0xffff, v20
	v_lshlrev_b32_e32 v20, 24, v20
	s_delay_alu instid0(VALU_DEP_2) | instskip(NEXT) | instid1(VALU_DEP_2)
	v_and_b32_e32 v161, 7, v160
	v_and_b32_e32 v20, 0x80000000, v20
	s_delay_alu instid0(VALU_DEP_2) | instskip(NEXT) | instid1(VALU_DEP_1)
	v_clz_i32_u32_e32 v162, v161
	v_min_u32_e32 v162, 32, v162
	s_delay_alu instid0(VALU_DEP_1) | instskip(SKIP_1) | instid1(VALU_DEP_2)
	v_subrev_nc_u32_e32 v163, 28, v162
	v_sub_nc_u32_e32 v162, 29, v162
	v_lshlrev_b32_e32 v163, v163, v160
	v_bfe_u32 v160, v160, 3, 4
	s_delay_alu instid0(VALU_DEP_2) | instskip(NEXT) | instid1(VALU_DEP_2)
	v_and_b32_e32 v163, 7, v163
	v_cmp_eq_u32_e32 vcc_lo, 0, v160
	s_delay_alu instid0(VALU_DEP_2) | instskip(NEXT) | instid1(VALU_DEP_1)
	v_dual_cndmask_b32 v160, v160, v162 :: v_dual_cndmask_b32 v161, v161, v163
	v_lshl_add_u32 v160, v160, 23, 0x3b800000
	s_delay_alu instid0(VALU_DEP_2) | instskip(NEXT) | instid1(VALU_DEP_1)
	v_lshlrev_b32_e32 v161, 20, v161
	v_or3_b32 v160, v20, v160, v161
.LBB4_348:                              ;   in Loop: Header=BB4_266 Depth=3
	s_or_b32 exec_lo, exec_lo, s9
	s_delay_alu instid0(VALU_DEP_1) | instskip(NEXT) | instid1(VALU_DEP_1)
	v_mul_f32_e32 v20, v0, v160
	v_and_b32_e32 v160, 0x7f800000, v20
	s_delay_alu instid0(VALU_DEP_1)
	v_cmp_ne_u32_e32 vcc_lo, 0x7f800000, v160
	v_mov_b32_e32 v160, 0x8000
	s_and_saveexec_b32 s9, vcc_lo
	s_cbranch_execz .LBB4_356
; %bb.349:                              ;   in Loop: Header=BB4_266 Depth=3
	v_mov_b32_e32 v160, 0
	s_mov_b32 s20, exec_lo
	v_cmpx_ne_u32_e32 0, v20
	s_cbranch_execz .LBB4_355
; %bb.350:                              ;   in Loop: Header=BB4_266 Depth=3
	v_bfe_u32 v160, v20, 23, 8
	s_delay_alu instid0(VALU_DEP_1) | instskip(SKIP_1) | instid1(VALU_DEP_2)
	v_sub_nc_u32_e32 v162, 0x78, v160
	v_cmp_gt_u32_e32 vcc_lo, 0x79, v160
	v_dual_cndmask_b32 v162, 0, v162 :: v_dual_and_b32 v161, 0x7fffff, v20
	s_delay_alu instid0(VALU_DEP_1) | instskip(SKIP_2) | instid1(VALU_DEP_4)
	v_or_b32_e32 v163, 0x800000, v161
	v_cmp_eq_u32_e32 vcc_lo, 0, v160
	v_add_nc_u32_e32 v160, 0xffffff89, v160
	v_cndmask_b32_e64 v162, v162, 0x77, vcc_lo
	s_delay_alu instid0(VALU_DEP_4) | instskip(NEXT) | instid1(VALU_DEP_3)
	v_cndmask_b32_e32 v161, v163, v161, vcc_lo
	v_cndmask_b32_e64 v160, v160, 0xffffff8a, vcc_lo
	s_delay_alu instid0(VALU_DEP_3) | instskip(NEXT) | instid1(VALU_DEP_3)
	v_lshl_add_u32 v163, 0x100000, v162, -1
	v_lshrrev_b32_e32 v164, v162, v161
	v_lshlrev_b32_e64 v166, v162, 0x80000
	s_delay_alu instid0(VALU_DEP_4) | instskip(NEXT) | instid1(VALU_DEP_4)
	v_add_nc_u32_e32 v162, v162, v160
	v_and_b32_e32 v161, v163, v161
	s_delay_alu instid0(VALU_DEP_4) | instskip(NEXT) | instid1(VALU_DEP_2)
	v_bfe_u32 v165, v164, 20, 1
	v_cmp_eq_u32_e64 s8, v161, v166
	s_delay_alu instid0(VALU_DEP_2) | instskip(NEXT) | instid1(VALU_DEP_1)
	v_add_nc_u32_e32 v163, -1, v165
	v_cndmask_b32_e64 v161, 0, v163, s8
	v_lshrrev_b32_e32 v163, 23, v164
	s_mov_b32 s8, exec_lo
	s_delay_alu instid0(VALU_DEP_2) | instskip(NEXT) | instid1(VALU_DEP_2)
	v_add_nc_u32_e32 v161, v161, v164
	v_xor_b32_e32 v163, 1, v163
	s_delay_alu instid0(VALU_DEP_2) | instskip(NEXT) | instid1(VALU_DEP_1)
	v_and_b32_e32 v160, 0xfffff, v161
	v_add_nc_u32_e32 v161, v160, v164
                                        ; implicit-def: $vgpr160
	s_delay_alu instid0(VALU_DEP_3)
	v_cmpx_ne_u32_e64 v162, v163
	s_xor_b32 s8, exec_lo, s8
; %bb.351:                              ;   in Loop: Header=BB4_266 Depth=3
	s_delay_alu instid0(VALU_DEP_2) | instskip(SKIP_2) | instid1(VALU_DEP_2)
	v_cmp_lt_u32_e32 vcc_lo, 0xffffff, v161
	v_sub_nc_u32_e32 v160, v162, v163
	v_cndmask_b32_e64 v162, 0, 1, vcc_lo
	v_add_co_ci_u32_e32 v160, vcc_lo, 0, v160, vcc_lo
	s_delay_alu instid0(VALU_DEP_2)
	v_lshrrev_b32_e32 v161, v162, v161
; %bb.352:                              ;   in Loop: Header=BB4_266 Depth=3
	s_and_not1_saveexec_b32 s8, s8
; %bb.353:                              ;   in Loop: Header=BB4_266 Depth=3
	s_delay_alu instid0(VALU_DEP_1)
	v_bfe_u32 v160, v161, 23, 1
; %bb.354:                              ;   in Loop: Header=BB4_266 Depth=3
	s_or_b32 exec_lo, exec_lo, s8
	v_lshrrev_b32_e32 v161, 20, v161
	s_delay_alu instid0(VALU_DEP_2) | instskip(SKIP_2) | instid1(VALU_DEP_2)
	v_cmp_gt_i32_e32 vcc_lo, 16, v160
	v_min_i32_e32 v162, 15, v160
	v_lshrrev_b32_e32 v20, 24, v20
	v_dual_cndmask_b32 v161, 7, v161 :: v_dual_lshlrev_b32 v162, 3, v162
	s_delay_alu instid0(VALU_DEP_2) | instskip(NEXT) | instid1(VALU_DEP_2)
	v_and_b32_e32 v20, 0x80, v20
	v_or_b32_e32 v160, v160, v161
	s_delay_alu instid0(VALU_DEP_3) | instskip(NEXT) | instid1(VALU_DEP_2)
	v_and_b32_e32 v162, 0xf8, v162
	v_cmp_ne_u32_e32 vcc_lo, 0, v160
	v_and_b32_e32 v163, 7, v161
	s_delay_alu instid0(VALU_DEP_1) | instskip(NEXT) | instid1(VALU_DEP_1)
	v_or3_b32 v20, v20, v162, v163
	v_lshlrev_b32_e32 v20, 8, v20
	s_delay_alu instid0(VALU_DEP_1)
	v_cndmask_b32_e32 v160, 0, v20, vcc_lo
.LBB4_355:                              ;   in Loop: Header=BB4_266 Depth=3
	s_or_b32 exec_lo, exec_lo, s20
.LBB4_356:                              ;   in Loop: Header=BB4_266 Depth=3
	s_delay_alu instid0(SALU_CYCLE_1) | instskip(SKIP_3) | instid1(VALU_DEP_1)
	s_or_b32 exec_lo, exec_lo, s9
	v_lshrrev_b32_e32 v20, 16, v83
	s_mov_b32 s8, 0
	s_mov_b32 s20, exec_lo
                                        ; implicit-def: $sgpr9
	v_and_b32_e32 v162, 0xff, v20
	s_delay_alu instid0(VALU_DEP_1)
	v_cmpx_lt_i16_e64 0x7f, v162
	s_xor_b32 s20, exec_lo, s20
	s_cbranch_execnz .LBB4_530
; %bb.357:                              ;   in Loop: Header=BB4_266 Depth=3
	s_or_saveexec_b32 s20, s20
	v_mov_b32_e32 v161, s9
	s_xor_b32 exec_lo, exec_lo, s20
	s_cbranch_execnz .LBB4_533
.LBB4_358:                              ;   in Loop: Header=BB4_266 Depth=3
	s_or_b32 exec_lo, exec_lo, s20
	s_and_saveexec_b32 s9, s8
	s_cbranch_execz .LBB4_360
.LBB4_359:                              ;   in Loop: Header=BB4_266 Depth=3
	v_bfe_u32 v161, v83, 16, 3
	v_lshlrev_b32_e32 v164, 8, v83
	s_delay_alu instid0(VALU_DEP_2) | instskip(NEXT) | instid1(VALU_DEP_1)
	v_clz_i32_u32_e32 v162, v161
	v_min_u32_e32 v162, 32, v162
	s_delay_alu instid0(VALU_DEP_1) | instskip(SKIP_1) | instid1(VALU_DEP_2)
	v_subrev_nc_u32_e32 v163, 28, v162
	v_sub_nc_u32_e32 v162, 29, v162
	v_lshlrev_b32_e32 v20, v163, v20
	v_bfe_u32 v163, v83, 19, 4
	s_delay_alu instid0(VALU_DEP_2) | instskip(NEXT) | instid1(VALU_DEP_2)
	v_and_b32_e32 v20, 7, v20
	v_cmp_eq_u32_e32 vcc_lo, 0, v163
	v_cndmask_b32_e32 v162, v163, v162, vcc_lo
	s_delay_alu instid0(VALU_DEP_3) | instskip(SKIP_1) | instid1(VALU_DEP_3)
	v_cndmask_b32_e32 v20, v161, v20, vcc_lo
	v_and_b32_e32 v161, 0x80000000, v164
	v_lshl_add_u32 v162, v162, 23, 0x3b800000
	s_delay_alu instid0(VALU_DEP_3) | instskip(NEXT) | instid1(VALU_DEP_1)
	v_lshlrev_b32_e32 v20, 20, v20
	v_or3_b32 v161, v161, v162, v20
.LBB4_360:                              ;   in Loop: Header=BB4_266 Depth=3
	s_or_b32 exec_lo, exec_lo, s9
	s_delay_alu instid0(VALU_DEP_1) | instskip(NEXT) | instid1(VALU_DEP_1)
	v_mul_f32_e32 v161, v0, v161
	v_and_b32_e32 v20, 0x7f800000, v161
	s_delay_alu instid0(VALU_DEP_1)
	v_cmp_ne_u32_e32 vcc_lo, 0x7f800000, v20
	v_mov_b32_e32 v20, 0x80
	s_and_saveexec_b32 s9, vcc_lo
	s_cbranch_execz .LBB4_368
; %bb.361:                              ;   in Loop: Header=BB4_266 Depth=3
	v_mov_b32_e32 v20, 0
	s_mov_b32 s20, exec_lo
	v_cmpx_ne_u32_e32 0, v161
	s_cbranch_execz .LBB4_367
; %bb.362:                              ;   in Loop: Header=BB4_266 Depth=3
	v_bfe_u32 v20, v161, 23, 8
	s_delay_alu instid0(VALU_DEP_1) | instskip(SKIP_1) | instid1(VALU_DEP_2)
	v_sub_nc_u32_e32 v163, 0x78, v20
	v_cmp_gt_u32_e32 vcc_lo, 0x79, v20
	v_dual_cndmask_b32 v163, 0, v163 :: v_dual_and_b32 v162, 0x7fffff, v161
	s_delay_alu instid0(VALU_DEP_1) | instskip(SKIP_2) | instid1(VALU_DEP_4)
	v_or_b32_e32 v164, 0x800000, v162
	v_cmp_eq_u32_e32 vcc_lo, 0, v20
	v_add_nc_u32_e32 v20, 0xffffff89, v20
	v_cndmask_b32_e64 v163, v163, 0x77, vcc_lo
	s_delay_alu instid0(VALU_DEP_2) | instskip(SKIP_1) | instid1(VALU_DEP_3)
	v_cndmask_b32_e64 v20, v20, 0xffffff8a, vcc_lo
	v_cndmask_b32_e32 v162, v164, v162, vcc_lo
	v_lshl_add_u32 v164, 0x100000, v163, -1
	v_lshlrev_b32_e64 v167, v163, 0x80000
	s_delay_alu instid0(VALU_DEP_3) | instskip(SKIP_1) | instid1(VALU_DEP_4)
	v_lshrrev_b32_e32 v165, v163, v162
	v_add_nc_u32_e32 v163, v163, v20
	v_and_b32_e32 v162, v164, v162
	s_delay_alu instid0(VALU_DEP_3) | instskip(NEXT) | instid1(VALU_DEP_2)
	v_bfe_u32 v166, v165, 20, 1
	v_cmp_eq_u32_e64 s8, v162, v167
	s_delay_alu instid0(VALU_DEP_2) | instskip(NEXT) | instid1(VALU_DEP_1)
	v_add_nc_u32_e32 v164, -1, v166
	v_cndmask_b32_e64 v162, 0, v164, s8
	v_lshrrev_b32_e32 v164, 23, v165
	s_mov_b32 s8, exec_lo
	s_delay_alu instid0(VALU_DEP_2) | instskip(NEXT) | instid1(VALU_DEP_2)
	v_add_nc_u32_e32 v162, v162, v165
	v_xor_b32_e32 v164, 1, v164
	s_delay_alu instid0(VALU_DEP_2) | instskip(NEXT) | instid1(VALU_DEP_1)
	v_and_b32_e32 v20, 0xfffff, v162
	v_add_nc_u32_e32 v162, v20, v165
                                        ; implicit-def: $vgpr20
	s_delay_alu instid0(VALU_DEP_3)
	v_cmpx_ne_u32_e64 v163, v164
	s_xor_b32 s8, exec_lo, s8
; %bb.363:                              ;   in Loop: Header=BB4_266 Depth=3
	s_delay_alu instid0(VALU_DEP_2) | instskip(SKIP_2) | instid1(VALU_DEP_2)
	v_cmp_lt_u32_e32 vcc_lo, 0xffffff, v162
	v_sub_nc_u32_e32 v20, v163, v164
	v_cndmask_b32_e64 v163, 0, 1, vcc_lo
	v_add_co_ci_u32_e32 v20, vcc_lo, 0, v20, vcc_lo
	s_delay_alu instid0(VALU_DEP_2)
	v_lshrrev_b32_e32 v162, v163, v162
; %bb.364:                              ;   in Loop: Header=BB4_266 Depth=3
	s_and_not1_saveexec_b32 s8, s8
; %bb.365:                              ;   in Loop: Header=BB4_266 Depth=3
	s_delay_alu instid0(VALU_DEP_1)
	v_bfe_u32 v20, v162, 23, 1
; %bb.366:                              ;   in Loop: Header=BB4_266 Depth=3
	s_or_b32 exec_lo, exec_lo, s8
	v_lshrrev_b32_e32 v162, 20, v162
	s_delay_alu instid0(VALU_DEP_2) | instskip(SKIP_2) | instid1(VALU_DEP_2)
	v_cmp_gt_i32_e32 vcc_lo, 16, v20
	v_min_i32_e32 v163, 15, v20
	v_lshrrev_b32_e32 v161, 24, v161
	v_dual_cndmask_b32 v162, 7, v162 :: v_dual_lshlrev_b32 v163, 3, v163
	s_delay_alu instid0(VALU_DEP_2) | instskip(NEXT) | instid1(VALU_DEP_2)
	v_and_b32_e32 v161, 0x80, v161
	v_or_b32_e32 v20, v20, v162
	v_and_b32_e32 v164, 7, v162
	s_delay_alu instid0(VALU_DEP_2) | instskip(SKIP_1) | instid1(VALU_DEP_1)
	v_cmp_ne_u32_e32 vcc_lo, 0, v20
	v_and_b32_e32 v163, 0xf8, v163
	v_or3_b32 v161, v163, v161, v164
	s_delay_alu instid0(VALU_DEP_1)
	v_cndmask_b32_e32 v20, 0, v161, vcc_lo
.LBB4_367:                              ;   in Loop: Header=BB4_266 Depth=3
	s_or_b32 exec_lo, exec_lo, s20
.LBB4_368:                              ;   in Loop: Header=BB4_266 Depth=3
	s_delay_alu instid0(SALU_CYCLE_1) | instskip(SKIP_3) | instid1(VALU_DEP_1)
	s_or_b32 exec_lo, exec_lo, s9
	v_lshrrev_b32_e32 v161, 24, v83
	s_mov_b32 s8, 0
	s_mov_b32 s20, exec_lo
                                        ; implicit-def: $sgpr9
	v_cmpx_lt_i16_e64 0x7f, v161
	s_xor_b32 s20, exec_lo, s20
	s_cbranch_execnz .LBB4_534
; %bb.369:                              ;   in Loop: Header=BB4_266 Depth=3
	s_or_saveexec_b32 s20, s20
	v_mov_b32_e32 v162, s9
	s_xor_b32 exec_lo, exec_lo, s20
	s_cbranch_execnz .LBB4_537
.LBB4_370:                              ;   in Loop: Header=BB4_266 Depth=3
	s_or_b32 exec_lo, exec_lo, s20
	s_and_saveexec_b32 s9, s8
	s_cbranch_execz .LBB4_372
.LBB4_371:                              ;   in Loop: Header=BB4_266 Depth=3
	v_bfe_u32 v162, v83, 24, 3
	s_delay_alu instid0(VALU_DEP_1) | instskip(NEXT) | instid1(VALU_DEP_1)
	v_clz_i32_u32_e32 v163, v162
	v_min_u32_e32 v163, 32, v163
	s_delay_alu instid0(VALU_DEP_1) | instskip(SKIP_1) | instid1(VALU_DEP_2)
	v_subrev_nc_u32_e32 v164, 28, v163
	v_sub_nc_u32_e32 v163, 29, v163
	v_lshlrev_b32_e32 v161, v164, v161
	v_bfe_u32 v164, v83, 27, 4
	v_and_b32_e32 v83, 0x80000000, v83
	s_delay_alu instid0(VALU_DEP_3) | instskip(NEXT) | instid1(VALU_DEP_3)
	v_and_b32_e32 v161, 7, v161
	v_cmp_eq_u32_e32 vcc_lo, 0, v164
	v_cndmask_b32_e32 v163, v164, v163, vcc_lo
	s_delay_alu instid0(VALU_DEP_3) | instskip(NEXT) | instid1(VALU_DEP_2)
	v_cndmask_b32_e32 v161, v162, v161, vcc_lo
	v_lshl_add_u32 v162, v163, 23, 0x3b800000
	s_delay_alu instid0(VALU_DEP_2) | instskip(NEXT) | instid1(VALU_DEP_1)
	v_lshlrev_b32_e32 v161, 20, v161
	v_or3_b32 v162, v83, v162, v161
.LBB4_372:                              ;   in Loop: Header=BB4_266 Depth=3
	s_or_b32 exec_lo, exec_lo, s9
	s_delay_alu instid0(VALU_DEP_1) | instskip(NEXT) | instid1(VALU_DEP_1)
	v_mul_f32_e32 v161, v0, v162
	v_and_b32_e32 v83, 0x7f800000, v161
	s_delay_alu instid0(VALU_DEP_1)
	v_cmp_ne_u32_e32 vcc_lo, 0x7f800000, v83
	v_mov_b32_e32 v83, 0x8000
	s_and_saveexec_b32 s9, vcc_lo
	s_cbranch_execz .LBB4_380
; %bb.373:                              ;   in Loop: Header=BB4_266 Depth=3
	v_mov_b32_e32 v83, 0
	s_mov_b32 s20, exec_lo
	v_cmpx_ne_u32_e32 0, v161
	s_cbranch_execz .LBB4_379
; %bb.374:                              ;   in Loop: Header=BB4_266 Depth=3
	v_bfe_u32 v83, v161, 23, 8
	s_delay_alu instid0(VALU_DEP_1) | instskip(SKIP_1) | instid1(VALU_DEP_2)
	v_sub_nc_u32_e32 v163, 0x78, v83
	v_cmp_gt_u32_e32 vcc_lo, 0x79, v83
	v_dual_cndmask_b32 v163, 0, v163 :: v_dual_and_b32 v162, 0x7fffff, v161
	s_delay_alu instid0(VALU_DEP_1) | instskip(SKIP_2) | instid1(VALU_DEP_4)
	v_or_b32_e32 v164, 0x800000, v162
	v_cmp_eq_u32_e32 vcc_lo, 0, v83
	v_add_nc_u32_e32 v83, 0xffffff89, v83
	v_cndmask_b32_e64 v163, v163, 0x77, vcc_lo
	s_delay_alu instid0(VALU_DEP_4) | instskip(NEXT) | instid1(VALU_DEP_3)
	v_cndmask_b32_e32 v162, v164, v162, vcc_lo
	v_cndmask_b32_e64 v83, v83, 0xffffff8a, vcc_lo
	s_delay_alu instid0(VALU_DEP_3) | instskip(NEXT) | instid1(VALU_DEP_3)
	v_lshl_add_u32 v164, 0x100000, v163, -1
	v_lshrrev_b32_e32 v165, v163, v162
	v_lshlrev_b32_e64 v167, v163, 0x80000
	s_delay_alu instid0(VALU_DEP_4) | instskip(NEXT) | instid1(VALU_DEP_4)
	v_add_nc_u32_e32 v163, v163, v83
	v_and_b32_e32 v162, v164, v162
	s_delay_alu instid0(VALU_DEP_4) | instskip(NEXT) | instid1(VALU_DEP_2)
	v_bfe_u32 v166, v165, 20, 1
	v_cmp_eq_u32_e64 s8, v162, v167
	s_delay_alu instid0(VALU_DEP_2) | instskip(NEXT) | instid1(VALU_DEP_1)
	v_add_nc_u32_e32 v164, -1, v166
	v_cndmask_b32_e64 v162, 0, v164, s8
	v_lshrrev_b32_e32 v164, 23, v165
	s_mov_b32 s8, exec_lo
	s_delay_alu instid0(VALU_DEP_2) | instskip(NEXT) | instid1(VALU_DEP_2)
	v_add_nc_u32_e32 v162, v162, v165
	v_xor_b32_e32 v164, 1, v164
	s_delay_alu instid0(VALU_DEP_2) | instskip(NEXT) | instid1(VALU_DEP_1)
	v_and_b32_e32 v83, 0xfffff, v162
	v_add_nc_u32_e32 v162, v83, v165
                                        ; implicit-def: $vgpr83
	s_delay_alu instid0(VALU_DEP_3)
	v_cmpx_ne_u32_e64 v163, v164
	s_xor_b32 s8, exec_lo, s8
; %bb.375:                              ;   in Loop: Header=BB4_266 Depth=3
	s_delay_alu instid0(VALU_DEP_2) | instskip(SKIP_2) | instid1(VALU_DEP_2)
	v_cmp_lt_u32_e32 vcc_lo, 0xffffff, v162
	v_sub_nc_u32_e32 v83, v163, v164
	v_cndmask_b32_e64 v163, 0, 1, vcc_lo
	v_add_co_ci_u32_e32 v83, vcc_lo, 0, v83, vcc_lo
	s_delay_alu instid0(VALU_DEP_2)
	v_lshrrev_b32_e32 v162, v163, v162
; %bb.376:                              ;   in Loop: Header=BB4_266 Depth=3
	s_and_not1_saveexec_b32 s8, s8
; %bb.377:                              ;   in Loop: Header=BB4_266 Depth=3
	s_delay_alu instid0(VALU_DEP_1)
	v_bfe_u32 v83, v162, 23, 1
; %bb.378:                              ;   in Loop: Header=BB4_266 Depth=3
	s_or_b32 exec_lo, exec_lo, s8
	v_lshrrev_b32_e32 v162, 20, v162
	s_delay_alu instid0(VALU_DEP_2) | instskip(SKIP_2) | instid1(VALU_DEP_2)
	v_cmp_gt_i32_e32 vcc_lo, 16, v83
	v_min_i32_e32 v163, 15, v83
	v_lshrrev_b32_e32 v161, 24, v161
	v_dual_cndmask_b32 v162, 7, v162 :: v_dual_lshlrev_b32 v163, 3, v163
	s_delay_alu instid0(VALU_DEP_2) | instskip(NEXT) | instid1(VALU_DEP_2)
	v_and_b32_e32 v161, 0x80, v161
	v_or_b32_e32 v83, v83, v162
	s_delay_alu instid0(VALU_DEP_3) | instskip(NEXT) | instid1(VALU_DEP_2)
	v_and_b32_e32 v163, 0xf8, v163
	v_cmp_ne_u32_e32 vcc_lo, 0, v83
	v_and_b32_e32 v164, 7, v162
	s_delay_alu instid0(VALU_DEP_1) | instskip(NEXT) | instid1(VALU_DEP_1)
	v_or3_b32 v161, v161, v163, v164
	v_lshlrev_b32_e32 v161, 8, v161
	s_delay_alu instid0(VALU_DEP_1)
	v_cndmask_b32_e32 v83, 0, v161, vcc_lo
.LBB4_379:                              ;   in Loop: Header=BB4_266 Depth=3
	s_or_b32 exec_lo, exec_lo, s20
.LBB4_380:                              ;   in Loop: Header=BB4_266 Depth=3
	s_delay_alu instid0(SALU_CYCLE_1) | instskip(SKIP_3) | instid1(VALU_DEP_1)
	s_or_b32 exec_lo, exec_lo, s9
	v_and_b32_e32 v162, 0xff, v19
	s_mov_b32 s8, 0
	s_mov_b32 s20, exec_lo
                                        ; implicit-def: $sgpr9
	v_cmpx_lt_i16_e64 0x7f, v162
	s_xor_b32 s20, exec_lo, s20
	s_cbranch_execnz .LBB4_538
; %bb.381:                              ;   in Loop: Header=BB4_266 Depth=3
	s_or_saveexec_b32 s20, s20
	v_mov_b32_e32 v161, s9
	s_xor_b32 exec_lo, exec_lo, s20
	s_cbranch_execnz .LBB4_541
.LBB4_382:                              ;   in Loop: Header=BB4_266 Depth=3
	s_or_b32 exec_lo, exec_lo, s20
	s_and_saveexec_b32 s9, s8
	s_cbranch_execz .LBB4_384
.LBB4_383:                              ;   in Loop: Header=BB4_266 Depth=3
	v_bfe_u32 v164, v19, 3, 4
	v_lshlrev_b32_e32 v165, 24, v19
	s_delay_alu instid0(VALU_DEP_2) | instskip(SKIP_1) | instid1(VALU_DEP_1)
	v_cmp_eq_u32_e32 vcc_lo, 0, v164
	v_and_b32_e32 v161, 7, v19
	v_clz_i32_u32_e32 v162, v161
	s_delay_alu instid0(VALU_DEP_1) | instskip(NEXT) | instid1(VALU_DEP_1)
	v_min_u32_e32 v162, 32, v162
	v_subrev_nc_u32_e32 v163, 28, v162
	v_sub_nc_u32_e32 v162, 29, v162
	s_delay_alu instid0(VALU_DEP_1) | instskip(NEXT) | instid1(VALU_DEP_1)
	v_dual_cndmask_b32 v162, v164, v162 :: v_dual_lshlrev_b32 v163, v163, v19
	v_and_b32_e32 v163, 7, v163
	s_delay_alu instid0(VALU_DEP_2) | instskip(NEXT) | instid1(VALU_DEP_2)
	v_lshl_add_u32 v162, v162, 23, 0x3b800000
	v_cndmask_b32_e32 v161, v161, v163, vcc_lo
	v_and_b32_e32 v163, 0x80000000, v165
	s_delay_alu instid0(VALU_DEP_2) | instskip(NEXT) | instid1(VALU_DEP_1)
	v_lshlrev_b32_e32 v161, 20, v161
	v_or3_b32 v161, v163, v162, v161
.LBB4_384:                              ;   in Loop: Header=BB4_266 Depth=3
	s_or_b32 exec_lo, exec_lo, s9
	v_and_b32_e32 v163, 0xff, v17
	s_mov_b32 s8, 0
	s_mov_b32 s20, exec_lo
                                        ; implicit-def: $sgpr9
	s_delay_alu instid0(VALU_DEP_1)
	v_cmpx_lt_i16_e64 0x7f, v163
	s_xor_b32 s20, exec_lo, s20
	s_cbranch_execnz .LBB4_542
; %bb.385:                              ;   in Loop: Header=BB4_266 Depth=3
	s_or_saveexec_b32 s20, s20
	v_mov_b32_e32 v162, s9
	s_xor_b32 exec_lo, exec_lo, s20
	s_cbranch_execnz .LBB4_545
.LBB4_386:                              ;   in Loop: Header=BB4_266 Depth=3
	s_or_b32 exec_lo, exec_lo, s20
	s_and_saveexec_b32 s9, s8
	s_cbranch_execz .LBB4_388
.LBB4_387:                              ;   in Loop: Header=BB4_266 Depth=3
	v_bfe_u32 v165, v17, 3, 4
	s_delay_alu instid0(VALU_DEP_1) | instskip(SKIP_1) | instid1(VALU_DEP_1)
	v_cmp_eq_u32_e32 vcc_lo, 0, v165
	v_and_b32_e32 v162, 7, v17
	v_clz_i32_u32_e32 v163, v162
	s_delay_alu instid0(VALU_DEP_1) | instskip(NEXT) | instid1(VALU_DEP_1)
	v_min_u32_e32 v163, 32, v163
	v_subrev_nc_u32_e32 v164, 28, v163
	v_sub_nc_u32_e32 v163, 29, v163
	s_delay_alu instid0(VALU_DEP_1) | instskip(NEXT) | instid1(VALU_DEP_1)
	v_dual_cndmask_b32 v163, v165, v163 :: v_dual_lshlrev_b32 v164, v164, v17
	v_and_b32_e32 v164, 7, v164
	v_lshlrev_b32_e32 v17, 24, v17
	s_delay_alu instid0(VALU_DEP_3) | instskip(NEXT) | instid1(VALU_DEP_2)
	v_lshl_add_u32 v163, v163, 23, 0x3b800000
	v_dual_cndmask_b32 v162, v162, v164 :: v_dual_and_b32 v17, 0x80000000, v17
	s_delay_alu instid0(VALU_DEP_1) | instskip(NEXT) | instid1(VALU_DEP_1)
	v_lshlrev_b32_e32 v162, 20, v162
	v_or3_b32 v162, v17, v163, v162
.LBB4_388:                              ;   in Loop: Header=BB4_266 Depth=3
	s_or_b32 exec_lo, exec_lo, s9
	s_delay_alu instid0(VALU_DEP_1) | instskip(NEXT) | instid1(VALU_DEP_1)
	v_add_f32_e32 v161, v161, v162
	v_and_b32_e32 v17, 0x7f800000, v161
	s_delay_alu instid0(VALU_DEP_1)
	v_cmp_ne_u32_e32 vcc_lo, 0x7f800000, v17
	v_mov_b32_e32 v17, 0x80
	s_and_saveexec_b32 s9, vcc_lo
	s_cbranch_execz .LBB4_396
; %bb.389:                              ;   in Loop: Header=BB4_266 Depth=3
	v_mov_b32_e32 v17, 0
	s_mov_b32 s20, exec_lo
	v_cmpx_ne_u32_e32 0, v161
	s_cbranch_execz .LBB4_395
; %bb.390:                              ;   in Loop: Header=BB4_266 Depth=3
	v_bfe_u32 v17, v161, 23, 8
	s_delay_alu instid0(VALU_DEP_1) | instskip(SKIP_1) | instid1(VALU_DEP_2)
	v_sub_nc_u32_e32 v163, 0x78, v17
	v_cmp_gt_u32_e32 vcc_lo, 0x79, v17
	v_dual_cndmask_b32 v163, 0, v163 :: v_dual_and_b32 v162, 0x7fffff, v161
	s_delay_alu instid0(VALU_DEP_1) | instskip(SKIP_2) | instid1(VALU_DEP_4)
	v_or_b32_e32 v164, 0x800000, v162
	v_cmp_eq_u32_e32 vcc_lo, 0, v17
	v_add_nc_u32_e32 v17, 0xffffff89, v17
	v_cndmask_b32_e64 v163, v163, 0x77, vcc_lo
	s_delay_alu instid0(VALU_DEP_4) | instskip(NEXT) | instid1(VALU_DEP_3)
	v_cndmask_b32_e32 v162, v164, v162, vcc_lo
	v_cndmask_b32_e64 v17, v17, 0xffffff8a, vcc_lo
	s_delay_alu instid0(VALU_DEP_3) | instskip(NEXT) | instid1(VALU_DEP_3)
	v_lshl_add_u32 v164, 0x100000, v163, -1
	v_lshrrev_b32_e32 v165, v163, v162
	v_lshlrev_b32_e64 v167, v163, 0x80000
	s_delay_alu instid0(VALU_DEP_4) | instskip(NEXT) | instid1(VALU_DEP_4)
	v_add_nc_u32_e32 v163, v163, v17
	v_and_b32_e32 v162, v164, v162
	s_delay_alu instid0(VALU_DEP_4) | instskip(NEXT) | instid1(VALU_DEP_2)
	v_bfe_u32 v166, v165, 20, 1
	v_cmp_eq_u32_e64 s8, v162, v167
	s_delay_alu instid0(VALU_DEP_2) | instskip(NEXT) | instid1(VALU_DEP_1)
	v_add_nc_u32_e32 v164, -1, v166
	v_cndmask_b32_e64 v162, 0, v164, s8
	v_lshrrev_b32_e32 v164, 23, v165
	s_mov_b32 s8, exec_lo
	s_delay_alu instid0(VALU_DEP_2) | instskip(NEXT) | instid1(VALU_DEP_2)
	v_add_nc_u32_e32 v162, v162, v165
	v_xor_b32_e32 v164, 1, v164
	s_delay_alu instid0(VALU_DEP_2) | instskip(NEXT) | instid1(VALU_DEP_1)
	v_and_b32_e32 v17, 0xfffff, v162
	v_add_nc_u32_e32 v162, v17, v165
                                        ; implicit-def: $vgpr17
	s_delay_alu instid0(VALU_DEP_3)
	v_cmpx_ne_u32_e64 v163, v164
	s_xor_b32 s8, exec_lo, s8
; %bb.391:                              ;   in Loop: Header=BB4_266 Depth=3
	s_delay_alu instid0(VALU_DEP_2) | instskip(SKIP_2) | instid1(VALU_DEP_2)
	v_cmp_lt_u32_e32 vcc_lo, 0xffffff, v162
	v_sub_nc_u32_e32 v17, v163, v164
	v_cndmask_b32_e64 v163, 0, 1, vcc_lo
	v_add_co_ci_u32_e32 v17, vcc_lo, 0, v17, vcc_lo
	s_delay_alu instid0(VALU_DEP_2)
	v_lshrrev_b32_e32 v162, v163, v162
; %bb.392:                              ;   in Loop: Header=BB4_266 Depth=3
	s_and_not1_saveexec_b32 s8, s8
; %bb.393:                              ;   in Loop: Header=BB4_266 Depth=3
	s_delay_alu instid0(VALU_DEP_1)
	v_bfe_u32 v17, v162, 23, 1
; %bb.394:                              ;   in Loop: Header=BB4_266 Depth=3
	s_or_b32 exec_lo, exec_lo, s8
	v_lshrrev_b32_e32 v162, 20, v162
	s_delay_alu instid0(VALU_DEP_2) | instskip(SKIP_2) | instid1(VALU_DEP_2)
	v_cmp_gt_i32_e32 vcc_lo, 16, v17
	v_lshrrev_b32_e32 v161, 24, v161
	v_min_i32_e32 v163, 15, v17
	v_dual_cndmask_b32 v162, 7, v162 :: v_dual_and_b32 v161, 0x80, v161
	s_delay_alu instid0(VALU_DEP_2) | instskip(NEXT) | instid1(VALU_DEP_2)
	v_lshlrev_b32_e32 v163, 3, v163
	v_or_b32_e32 v17, v17, v162
	s_delay_alu instid0(VALU_DEP_1) | instskip(SKIP_1) | instid1(VALU_DEP_1)
	v_cmp_ne_u32_e32 vcc_lo, 0, v17
	v_and_b32_e32 v164, 7, v162
	v_or3_b32 v161, v163, v161, v164
	s_delay_alu instid0(VALU_DEP_1)
	v_cndmask_b32_e32 v17, 0, v161, vcc_lo
.LBB4_395:                              ;   in Loop: Header=BB4_266 Depth=3
	s_or_b32 exec_lo, exec_lo, s20
.LBB4_396:                              ;   in Loop: Header=BB4_266 Depth=3
	s_delay_alu instid0(SALU_CYCLE_1) | instskip(SKIP_3) | instid1(VALU_DEP_1)
	s_or_b32 exec_lo, exec_lo, s9
	v_lshrrev_b16 v162, 8, v19
	s_mov_b32 s8, 0
	s_mov_b32 s20, exec_lo
                                        ; implicit-def: $sgpr9
	v_cmpx_lt_i16_e64 0x7f, v162
	s_xor_b32 s20, exec_lo, s20
	s_cbranch_execnz .LBB4_546
; %bb.397:                              ;   in Loop: Header=BB4_266 Depth=3
	s_or_saveexec_b32 s20, s20
	v_mov_b32_e32 v161, s9
	s_xor_b32 exec_lo, exec_lo, s20
	s_cbranch_execnz .LBB4_549
.LBB4_398:                              ;   in Loop: Header=BB4_266 Depth=3
	s_or_b32 exec_lo, exec_lo, s20
	s_and_saveexec_b32 s9, s8
	s_cbranch_execz .LBB4_400
.LBB4_399:                              ;   in Loop: Header=BB4_266 Depth=3
	v_and_b32_e32 v161, 0xffff, v162
	s_delay_alu instid0(VALU_DEP_1) | instskip(NEXT) | instid1(VALU_DEP_1)
	v_and_b32_e32 v163, 7, v161
	v_clz_i32_u32_e32 v164, v163
	s_delay_alu instid0(VALU_DEP_1) | instskip(NEXT) | instid1(VALU_DEP_1)
	v_min_u32_e32 v164, 32, v164
	v_subrev_nc_u32_e32 v165, 28, v164
	v_sub_nc_u32_e32 v164, 29, v164
	s_delay_alu instid0(VALU_DEP_2) | instskip(SKIP_1) | instid1(VALU_DEP_2)
	v_lshlrev_b32_e32 v165, v165, v161
	v_bfe_u32 v161, v161, 3, 4
	v_and_b32_e32 v165, 7, v165
	s_delay_alu instid0(VALU_DEP_2) | instskip(SKIP_1) | instid1(VALU_DEP_1)
	v_cmp_eq_u32_e32 vcc_lo, 0, v161
	v_dual_cndmask_b32 v161, v161, v164 :: v_dual_lshlrev_b32 v162, 24, v162
	v_dual_cndmask_b32 v163, v163, v165 :: v_dual_and_b32 v162, 0x80000000, v162
	s_delay_alu instid0(VALU_DEP_2) | instskip(NEXT) | instid1(VALU_DEP_2)
	v_lshl_add_u32 v161, v161, 23, 0x3b800000
	v_lshlrev_b32_e32 v163, 20, v163
	s_delay_alu instid0(VALU_DEP_1)
	v_or3_b32 v161, v162, v161, v163
.LBB4_400:                              ;   in Loop: Header=BB4_266 Depth=3
	s_or_b32 exec_lo, exec_lo, s9
	v_and_b32_e32 v163, 0xff, v151
	s_mov_b32 s8, 0
	s_mov_b32 s20, exec_lo
                                        ; implicit-def: $sgpr9
	s_delay_alu instid0(VALU_DEP_1)
	v_cmpx_lt_i16_e64 0x7f, v163
	s_xor_b32 s20, exec_lo, s20
	s_cbranch_execnz .LBB4_550
; %bb.401:                              ;   in Loop: Header=BB4_266 Depth=3
	s_or_saveexec_b32 s20, s20
	v_mov_b32_e32 v162, s9
	s_xor_b32 exec_lo, exec_lo, s20
	s_cbranch_execnz .LBB4_553
.LBB4_402:                              ;   in Loop: Header=BB4_266 Depth=3
	s_or_b32 exec_lo, exec_lo, s20
	s_and_saveexec_b32 s9, s8
	s_cbranch_execz .LBB4_404
.LBB4_403:                              ;   in Loop: Header=BB4_266 Depth=3
	v_and_b32_e32 v162, 7, v151
	v_bfe_u32 v165, v151, 3, 4
	s_delay_alu instid0(VALU_DEP_2) | instskip(NEXT) | instid1(VALU_DEP_2)
	v_clz_i32_u32_e32 v163, v162
	v_cmp_eq_u32_e32 vcc_lo, 0, v165
	s_delay_alu instid0(VALU_DEP_2) | instskip(NEXT) | instid1(VALU_DEP_1)
	v_min_u32_e32 v163, 32, v163
	v_subrev_nc_u32_e32 v164, 28, v163
	v_sub_nc_u32_e32 v163, 29, v163
	s_delay_alu instid0(VALU_DEP_2) | instskip(NEXT) | instid1(VALU_DEP_1)
	v_lshlrev_b32_e32 v164, v164, v151
	v_dual_cndmask_b32 v163, v165, v163 :: v_dual_and_b32 v164, 7, v164
	v_lshlrev_b32_e32 v151, 24, v151
	s_delay_alu instid0(VALU_DEP_2) | instskip(NEXT) | instid1(VALU_DEP_2)
	v_lshl_add_u32 v163, v163, 23, 0x3b800000
	v_dual_cndmask_b32 v162, v162, v164 :: v_dual_and_b32 v151, 0x80000000, v151
	s_delay_alu instid0(VALU_DEP_1) | instskip(NEXT) | instid1(VALU_DEP_1)
	v_lshlrev_b32_e32 v162, 20, v162
	v_or3_b32 v162, v151, v163, v162
.LBB4_404:                              ;   in Loop: Header=BB4_266 Depth=3
	s_or_b32 exec_lo, exec_lo, s9
	s_delay_alu instid0(VALU_DEP_1) | instskip(NEXT) | instid1(VALU_DEP_1)
	v_add_f32_e32 v161, v161, v162
	v_and_b32_e32 v151, 0x7f800000, v161
	s_delay_alu instid0(VALU_DEP_1)
	v_cmp_ne_u32_e32 vcc_lo, 0x7f800000, v151
	v_mov_b32_e32 v151, 0x80
	s_and_saveexec_b32 s9, vcc_lo
	s_cbranch_execz .LBB4_412
; %bb.405:                              ;   in Loop: Header=BB4_266 Depth=3
	v_mov_b32_e32 v151, 0
	s_mov_b32 s20, exec_lo
	v_cmpx_ne_u32_e32 0, v161
	s_cbranch_execz .LBB4_411
; %bb.406:                              ;   in Loop: Header=BB4_266 Depth=3
	v_bfe_u32 v151, v161, 23, 8
	s_delay_alu instid0(VALU_DEP_1) | instskip(SKIP_1) | instid1(VALU_DEP_2)
	v_sub_nc_u32_e32 v163, 0x78, v151
	v_cmp_gt_u32_e32 vcc_lo, 0x79, v151
	v_dual_cndmask_b32 v163, 0, v163 :: v_dual_and_b32 v162, 0x7fffff, v161
	s_delay_alu instid0(VALU_DEP_1) | instskip(SKIP_2) | instid1(VALU_DEP_4)
	v_or_b32_e32 v164, 0x800000, v162
	v_cmp_eq_u32_e32 vcc_lo, 0, v151
	v_add_nc_u32_e32 v151, 0xffffff89, v151
	v_cndmask_b32_e64 v163, v163, 0x77, vcc_lo
	s_delay_alu instid0(VALU_DEP_4) | instskip(NEXT) | instid1(VALU_DEP_3)
	v_cndmask_b32_e32 v162, v164, v162, vcc_lo
	v_cndmask_b32_e64 v151, v151, 0xffffff8a, vcc_lo
	s_delay_alu instid0(VALU_DEP_3) | instskip(NEXT) | instid1(VALU_DEP_3)
	v_lshl_add_u32 v164, 0x100000, v163, -1
	v_lshrrev_b32_e32 v165, v163, v162
	v_lshlrev_b32_e64 v167, v163, 0x80000
	s_delay_alu instid0(VALU_DEP_4) | instskip(NEXT) | instid1(VALU_DEP_4)
	v_add_nc_u32_e32 v163, v163, v151
	v_and_b32_e32 v162, v164, v162
	s_delay_alu instid0(VALU_DEP_4) | instskip(NEXT) | instid1(VALU_DEP_2)
	v_bfe_u32 v166, v165, 20, 1
	v_cmp_eq_u32_e64 s8, v162, v167
	s_delay_alu instid0(VALU_DEP_2) | instskip(NEXT) | instid1(VALU_DEP_1)
	v_add_nc_u32_e32 v164, -1, v166
	v_cndmask_b32_e64 v162, 0, v164, s8
	v_lshrrev_b32_e32 v164, 23, v165
	s_mov_b32 s8, exec_lo
	s_delay_alu instid0(VALU_DEP_2) | instskip(NEXT) | instid1(VALU_DEP_2)
	v_add_nc_u32_e32 v162, v162, v165
	v_xor_b32_e32 v164, 1, v164
	s_delay_alu instid0(VALU_DEP_2) | instskip(NEXT) | instid1(VALU_DEP_1)
	v_and_b32_e32 v151, 0xfffff, v162
	v_add_nc_u32_e32 v162, v151, v165
                                        ; implicit-def: $vgpr151
	s_delay_alu instid0(VALU_DEP_3)
	v_cmpx_ne_u32_e64 v163, v164
	s_xor_b32 s8, exec_lo, s8
; %bb.407:                              ;   in Loop: Header=BB4_266 Depth=3
	s_delay_alu instid0(VALU_DEP_2) | instskip(SKIP_2) | instid1(VALU_DEP_2)
	v_cmp_lt_u32_e32 vcc_lo, 0xffffff, v162
	v_sub_nc_u32_e32 v151, v163, v164
	v_cndmask_b32_e64 v163, 0, 1, vcc_lo
	v_add_co_ci_u32_e32 v151, vcc_lo, 0, v151, vcc_lo
	s_delay_alu instid0(VALU_DEP_2)
	v_lshrrev_b32_e32 v162, v163, v162
; %bb.408:                              ;   in Loop: Header=BB4_266 Depth=3
	s_and_not1_saveexec_b32 s8, s8
; %bb.409:                              ;   in Loop: Header=BB4_266 Depth=3
	s_delay_alu instid0(VALU_DEP_1)
	v_bfe_u32 v151, v162, 23, 1
; %bb.410:                              ;   in Loop: Header=BB4_266 Depth=3
	s_or_b32 exec_lo, exec_lo, s8
	v_lshrrev_b32_e32 v162, 20, v162
	s_delay_alu instid0(VALU_DEP_2) | instskip(SKIP_2) | instid1(VALU_DEP_2)
	v_cmp_gt_i32_e32 vcc_lo, 16, v151
	v_lshrrev_b32_e32 v161, 24, v161
	v_min_i32_e32 v163, 15, v151
	v_dual_cndmask_b32 v162, 7, v162 :: v_dual_and_b32 v161, 0x80, v161
	s_delay_alu instid0(VALU_DEP_2) | instskip(NEXT) | instid1(VALU_DEP_2)
	v_lshlrev_b32_e32 v163, 3, v163
	v_or_b32_e32 v151, v151, v162
	s_delay_alu instid0(VALU_DEP_1) | instskip(SKIP_1) | instid1(VALU_DEP_1)
	v_cmp_ne_u32_e32 vcc_lo, 0, v151
	v_and_b32_e32 v164, 7, v162
	v_or3_b32 v161, v163, v161, v164
	s_delay_alu instid0(VALU_DEP_1)
	v_cndmask_b32_e32 v151, 0, v161, vcc_lo
.LBB4_411:                              ;   in Loop: Header=BB4_266 Depth=3
	s_or_b32 exec_lo, exec_lo, s20
.LBB4_412:                              ;   in Loop: Header=BB4_266 Depth=3
	s_delay_alu instid0(SALU_CYCLE_1) | instskip(SKIP_3) | instid1(VALU_DEP_1)
	s_or_b32 exec_lo, exec_lo, s9
	v_lshrrev_b32_e32 v162, 16, v19
	s_mov_b32 s8, 0
	s_mov_b32 s20, exec_lo
                                        ; implicit-def: $sgpr9
	v_and_b32_e32 v163, 0xff, v162
	s_delay_alu instid0(VALU_DEP_1)
	v_cmpx_lt_i16_e64 0x7f, v163
	s_xor_b32 s20, exec_lo, s20
	s_cbranch_execnz .LBB4_554
; %bb.413:                              ;   in Loop: Header=BB4_266 Depth=3
	s_or_saveexec_b32 s20, s20
	v_mov_b32_e32 v161, s9
	s_xor_b32 exec_lo, exec_lo, s20
	s_cbranch_execnz .LBB4_557
.LBB4_414:                              ;   in Loop: Header=BB4_266 Depth=3
	s_or_b32 exec_lo, exec_lo, s20
	s_and_saveexec_b32 s9, s8
	s_cbranch_execz .LBB4_416
.LBB4_415:                              ;   in Loop: Header=BB4_266 Depth=3
	v_bfe_u32 v161, v19, 16, 3
	v_lshlrev_b32_e32 v165, 8, v19
	s_delay_alu instid0(VALU_DEP_2) | instskip(NEXT) | instid1(VALU_DEP_1)
	v_clz_i32_u32_e32 v163, v161
	v_min_u32_e32 v163, 32, v163
	s_delay_alu instid0(VALU_DEP_1) | instskip(SKIP_1) | instid1(VALU_DEP_2)
	v_subrev_nc_u32_e32 v164, 28, v163
	v_sub_nc_u32_e32 v163, 29, v163
	v_lshlrev_b32_e32 v162, v164, v162
	v_bfe_u32 v164, v19, 19, 4
	s_delay_alu instid0(VALU_DEP_1) | instskip(NEXT) | instid1(VALU_DEP_3)
	v_cmp_eq_u32_e32 vcc_lo, 0, v164
	v_dual_cndmask_b32 v163, v164, v163 :: v_dual_and_b32 v162, 7, v162
	s_delay_alu instid0(VALU_DEP_1) | instskip(NEXT) | instid1(VALU_DEP_2)
	v_dual_cndmask_b32 v161, v161, v162 :: v_dual_and_b32 v162, 0x80000000, v165
	v_lshl_add_u32 v163, v163, 23, 0x3b800000
	s_delay_alu instid0(VALU_DEP_2) | instskip(NEXT) | instid1(VALU_DEP_1)
	v_lshlrev_b32_e32 v161, 20, v161
	v_or3_b32 v161, v162, v163, v161
.LBB4_416:                              ;   in Loop: Header=BB4_266 Depth=3
	s_or_b32 exec_lo, exec_lo, s9
	v_and_b32_e32 v163, 0xff, v97
	s_mov_b32 s8, 0
	s_mov_b32 s20, exec_lo
                                        ; implicit-def: $sgpr9
	s_delay_alu instid0(VALU_DEP_1)
	v_cmpx_lt_i16_e64 0x7f, v163
	s_xor_b32 s20, exec_lo, s20
	s_cbranch_execnz .LBB4_558
; %bb.417:                              ;   in Loop: Header=BB4_266 Depth=3
	s_or_saveexec_b32 s20, s20
	v_mov_b32_e32 v162, s9
	s_xor_b32 exec_lo, exec_lo, s20
	s_cbranch_execnz .LBB4_561
.LBB4_418:                              ;   in Loop: Header=BB4_266 Depth=3
	s_or_b32 exec_lo, exec_lo, s20
	s_and_saveexec_b32 s9, s8
	s_cbranch_execz .LBB4_420
.LBB4_419:                              ;   in Loop: Header=BB4_266 Depth=3
	v_bfe_u32 v165, v97, 3, 4
	s_delay_alu instid0(VALU_DEP_1) | instskip(SKIP_1) | instid1(VALU_DEP_1)
	v_cmp_eq_u32_e32 vcc_lo, 0, v165
	v_and_b32_e32 v162, 7, v97
	v_clz_i32_u32_e32 v163, v162
	s_delay_alu instid0(VALU_DEP_1) | instskip(NEXT) | instid1(VALU_DEP_1)
	v_min_u32_e32 v163, 32, v163
	v_subrev_nc_u32_e32 v164, 28, v163
	v_sub_nc_u32_e32 v163, 29, v163
	s_delay_alu instid0(VALU_DEP_1) | instskip(NEXT) | instid1(VALU_DEP_1)
	v_dual_cndmask_b32 v163, v165, v163 :: v_dual_lshlrev_b32 v164, v164, v97
	v_and_b32_e32 v164, 7, v164
	v_lshlrev_b32_e32 v97, 24, v97
	s_delay_alu instid0(VALU_DEP_3) | instskip(NEXT) | instid1(VALU_DEP_2)
	v_lshl_add_u32 v163, v163, 23, 0x3b800000
	v_dual_cndmask_b32 v162, v162, v164 :: v_dual_and_b32 v97, 0x80000000, v97
	s_delay_alu instid0(VALU_DEP_1) | instskip(NEXT) | instid1(VALU_DEP_1)
	v_lshlrev_b32_e32 v162, 20, v162
	v_or3_b32 v162, v97, v163, v162
.LBB4_420:                              ;   in Loop: Header=BB4_266 Depth=3
	s_or_b32 exec_lo, exec_lo, s9
	s_delay_alu instid0(VALU_DEP_1) | instskip(NEXT) | instid1(VALU_DEP_1)
	v_add_f32_e32 v161, v161, v162
	v_and_b32_e32 v97, 0x7f800000, v161
	s_delay_alu instid0(VALU_DEP_1)
	v_cmp_ne_u32_e32 vcc_lo, 0x7f800000, v97
	v_mov_b32_e32 v97, 0x80
	s_and_saveexec_b32 s9, vcc_lo
	s_cbranch_execz .LBB4_428
; %bb.421:                              ;   in Loop: Header=BB4_266 Depth=3
	v_mov_b32_e32 v97, 0
	s_mov_b32 s20, exec_lo
	v_cmpx_ne_u32_e32 0, v161
	s_cbranch_execz .LBB4_427
; %bb.422:                              ;   in Loop: Header=BB4_266 Depth=3
	v_bfe_u32 v97, v161, 23, 8
	s_delay_alu instid0(VALU_DEP_1) | instskip(SKIP_1) | instid1(VALU_DEP_2)
	v_sub_nc_u32_e32 v163, 0x78, v97
	v_cmp_gt_u32_e32 vcc_lo, 0x79, v97
	v_dual_cndmask_b32 v163, 0, v163 :: v_dual_and_b32 v162, 0x7fffff, v161
	s_delay_alu instid0(VALU_DEP_1) | instskip(SKIP_2) | instid1(VALU_DEP_4)
	v_or_b32_e32 v164, 0x800000, v162
	v_cmp_eq_u32_e32 vcc_lo, 0, v97
	v_add_nc_u32_e32 v97, 0xffffff89, v97
	v_cndmask_b32_e64 v163, v163, 0x77, vcc_lo
	s_delay_alu instid0(VALU_DEP_4) | instskip(NEXT) | instid1(VALU_DEP_3)
	v_cndmask_b32_e32 v162, v164, v162, vcc_lo
	v_cndmask_b32_e64 v97, v97, 0xffffff8a, vcc_lo
	s_delay_alu instid0(VALU_DEP_3) | instskip(NEXT) | instid1(VALU_DEP_3)
	v_lshl_add_u32 v164, 0x100000, v163, -1
	v_lshrrev_b32_e32 v165, v163, v162
	v_lshlrev_b32_e64 v167, v163, 0x80000
	s_delay_alu instid0(VALU_DEP_4) | instskip(NEXT) | instid1(VALU_DEP_4)
	v_add_nc_u32_e32 v163, v163, v97
	v_and_b32_e32 v162, v164, v162
	s_delay_alu instid0(VALU_DEP_4) | instskip(NEXT) | instid1(VALU_DEP_2)
	v_bfe_u32 v166, v165, 20, 1
	v_cmp_eq_u32_e64 s8, v162, v167
	s_delay_alu instid0(VALU_DEP_2) | instskip(NEXT) | instid1(VALU_DEP_1)
	v_add_nc_u32_e32 v164, -1, v166
	v_cndmask_b32_e64 v162, 0, v164, s8
	v_lshrrev_b32_e32 v164, 23, v165
	s_mov_b32 s8, exec_lo
	s_delay_alu instid0(VALU_DEP_2) | instskip(NEXT) | instid1(VALU_DEP_2)
	v_add_nc_u32_e32 v162, v162, v165
	v_xor_b32_e32 v164, 1, v164
	s_delay_alu instid0(VALU_DEP_2) | instskip(NEXT) | instid1(VALU_DEP_1)
	v_and_b32_e32 v97, 0xfffff, v162
	v_add_nc_u32_e32 v162, v97, v165
                                        ; implicit-def: $vgpr97
	s_delay_alu instid0(VALU_DEP_3)
	v_cmpx_ne_u32_e64 v163, v164
	s_xor_b32 s8, exec_lo, s8
; %bb.423:                              ;   in Loop: Header=BB4_266 Depth=3
	s_delay_alu instid0(VALU_DEP_2) | instskip(SKIP_2) | instid1(VALU_DEP_2)
	v_cmp_lt_u32_e32 vcc_lo, 0xffffff, v162
	v_sub_nc_u32_e32 v97, v163, v164
	v_cndmask_b32_e64 v163, 0, 1, vcc_lo
	v_add_co_ci_u32_e32 v97, vcc_lo, 0, v97, vcc_lo
	s_delay_alu instid0(VALU_DEP_2)
	v_lshrrev_b32_e32 v162, v163, v162
; %bb.424:                              ;   in Loop: Header=BB4_266 Depth=3
	s_and_not1_saveexec_b32 s8, s8
; %bb.425:                              ;   in Loop: Header=BB4_266 Depth=3
	s_delay_alu instid0(VALU_DEP_1)
	v_bfe_u32 v97, v162, 23, 1
; %bb.426:                              ;   in Loop: Header=BB4_266 Depth=3
	s_or_b32 exec_lo, exec_lo, s8
	v_lshrrev_b32_e32 v162, 20, v162
	s_delay_alu instid0(VALU_DEP_2) | instskip(SKIP_2) | instid1(VALU_DEP_2)
	v_cmp_gt_i32_e32 vcc_lo, 16, v97
	v_lshrrev_b32_e32 v161, 24, v161
	v_min_i32_e32 v163, 15, v97
	v_dual_cndmask_b32 v162, 7, v162 :: v_dual_and_b32 v161, 0x80, v161
	s_delay_alu instid0(VALU_DEP_2) | instskip(NEXT) | instid1(VALU_DEP_2)
	v_lshlrev_b32_e32 v163, 3, v163
	v_or_b32_e32 v97, v97, v162
	s_delay_alu instid0(VALU_DEP_1) | instskip(SKIP_1) | instid1(VALU_DEP_1)
	v_cmp_ne_u32_e32 vcc_lo, 0, v97
	v_and_b32_e32 v164, 7, v162
	v_or3_b32 v161, v163, v161, v164
	s_delay_alu instid0(VALU_DEP_1)
	v_cndmask_b32_e32 v97, 0, v161, vcc_lo
.LBB4_427:                              ;   in Loop: Header=BB4_266 Depth=3
	s_or_b32 exec_lo, exec_lo, s20
.LBB4_428:                              ;   in Loop: Header=BB4_266 Depth=3
	s_delay_alu instid0(SALU_CYCLE_1) | instskip(SKIP_3) | instid1(VALU_DEP_1)
	s_or_b32 exec_lo, exec_lo, s9
	v_lshrrev_b32_e32 v162, 24, v19
	s_mov_b32 s8, 0
	s_mov_b32 s20, exec_lo
                                        ; implicit-def: $sgpr9
	v_cmpx_lt_i16_e64 0x7f, v162
	s_xor_b32 s20, exec_lo, s20
	s_cbranch_execnz .LBB4_562
; %bb.429:                              ;   in Loop: Header=BB4_266 Depth=3
	s_or_saveexec_b32 s20, s20
	v_mov_b32_e32 v161, s9
	s_xor_b32 exec_lo, exec_lo, s20
	s_cbranch_execnz .LBB4_565
.LBB4_430:                              ;   in Loop: Header=BB4_266 Depth=3
	s_or_b32 exec_lo, exec_lo, s20
	s_and_saveexec_b32 s9, s8
	s_cbranch_execz .LBB4_432
.LBB4_431:                              ;   in Loop: Header=BB4_266 Depth=3
	v_bfe_u32 v161, v19, 24, 3
	s_delay_alu instid0(VALU_DEP_1) | instskip(NEXT) | instid1(VALU_DEP_1)
	v_clz_i32_u32_e32 v163, v161
	v_min_u32_e32 v163, 32, v163
	s_delay_alu instid0(VALU_DEP_1) | instskip(SKIP_1) | instid1(VALU_DEP_2)
	v_subrev_nc_u32_e32 v164, 28, v163
	v_sub_nc_u32_e32 v163, 29, v163
	v_lshlrev_b32_e32 v162, v164, v162
	v_bfe_u32 v164, v19, 27, 4
	v_and_b32_e32 v19, 0x80000000, v19
	s_delay_alu instid0(VALU_DEP_2) | instskip(NEXT) | instid1(VALU_DEP_4)
	v_cmp_eq_u32_e32 vcc_lo, 0, v164
	v_dual_cndmask_b32 v163, v164, v163 :: v_dual_and_b32 v162, 7, v162
	s_delay_alu instid0(VALU_DEP_1) | instskip(NEXT) | instid1(VALU_DEP_2)
	v_cndmask_b32_e32 v161, v161, v162, vcc_lo
	v_lshl_add_u32 v162, v163, 23, 0x3b800000
	s_delay_alu instid0(VALU_DEP_2) | instskip(NEXT) | instid1(VALU_DEP_1)
	v_lshlrev_b32_e32 v161, 20, v161
	v_or3_b32 v161, v19, v162, v161
.LBB4_432:                              ;   in Loop: Header=BB4_266 Depth=3
	s_or_b32 exec_lo, exec_lo, s9
	v_and_b32_e32 v19, 0xff, v96
	s_mov_b32 s8, 0
	s_mov_b32 s20, exec_lo
                                        ; implicit-def: $sgpr9
	s_delay_alu instid0(VALU_DEP_1)
	v_cmpx_lt_i16_e32 0x7f, v19
	s_xor_b32 s20, exec_lo, s20
	s_cbranch_execnz .LBB4_566
; %bb.433:                              ;   in Loop: Header=BB4_266 Depth=3
	s_or_saveexec_b32 s20, s20
	v_mov_b32_e32 v162, s9
	s_xor_b32 exec_lo, exec_lo, s20
	s_cbranch_execnz .LBB4_569
.LBB4_434:                              ;   in Loop: Header=BB4_266 Depth=3
	s_or_b32 exec_lo, exec_lo, s20
	s_and_saveexec_b32 s9, s8
	s_cbranch_execz .LBB4_436
.LBB4_435:                              ;   in Loop: Header=BB4_266 Depth=3
	v_lshlrev_b32_e32 v96, 8, v96
	s_delay_alu instid0(VALU_DEP_1) | instskip(SKIP_1) | instid1(VALU_DEP_2)
	v_and_b32_e32 v162, 0xff00, v96
	v_bfe_u32 v96, v96, 11, 4
	v_bfe_u32 v163, v162, 8, 3
	s_delay_alu instid0(VALU_DEP_2) | instskip(SKIP_1) | instid1(VALU_DEP_3)
	v_cmp_eq_u32_e32 vcc_lo, 0, v96
	v_lshlrev_b32_e32 v162, 16, v162
	v_clz_i32_u32_e32 v164, v163
	s_delay_alu instid0(VALU_DEP_2) | instskip(NEXT) | instid1(VALU_DEP_2)
	v_and_b32_e32 v162, 0x80000000, v162
	v_min_u32_e32 v164, 32, v164
	s_delay_alu instid0(VALU_DEP_1) | instskip(SKIP_1) | instid1(VALU_DEP_1)
	v_subrev_nc_u32_e32 v165, 28, v164
	v_sub_nc_u32_e32 v164, 29, v164
	v_dual_cndmask_b32 v96, v96, v164 :: v_dual_lshlrev_b32 v19, v165, v19
	s_delay_alu instid0(VALU_DEP_1) | instskip(NEXT) | instid1(VALU_DEP_2)
	v_and_b32_e32 v19, 7, v19
	v_lshl_add_u32 v96, v96, 23, 0x3b800000
	s_delay_alu instid0(VALU_DEP_2) | instskip(NEXT) | instid1(VALU_DEP_1)
	v_cndmask_b32_e32 v19, v163, v19, vcc_lo
	v_lshlrev_b32_e32 v19, 20, v19
	s_delay_alu instid0(VALU_DEP_1)
	v_or3_b32 v162, v162, v96, v19
.LBB4_436:                              ;   in Loop: Header=BB4_266 Depth=3
	s_or_b32 exec_lo, exec_lo, s9
	s_delay_alu instid0(VALU_DEP_1) | instskip(NEXT) | instid1(VALU_DEP_1)
	v_add_f32_e32 v96, v161, v162
	v_and_b32_e32 v19, 0x7f800000, v96
	s_delay_alu instid0(VALU_DEP_1)
	v_cmp_ne_u32_e32 vcc_lo, 0x7f800000, v19
	v_mov_b32_e32 v19, 0x80
	s_and_saveexec_b32 s9, vcc_lo
	s_cbranch_execz .LBB4_444
; %bb.437:                              ;   in Loop: Header=BB4_266 Depth=3
	v_mov_b32_e32 v19, 0
	s_mov_b32 s20, exec_lo
	v_cmpx_ne_u32_e32 0, v96
	s_cbranch_execz .LBB4_443
; %bb.438:                              ;   in Loop: Header=BB4_266 Depth=3
	v_bfe_u32 v19, v96, 23, 8
	s_delay_alu instid0(VALU_DEP_1) | instskip(SKIP_1) | instid1(VALU_DEP_2)
	v_sub_nc_u32_e32 v162, 0x78, v19
	v_cmp_gt_u32_e32 vcc_lo, 0x79, v19
	v_dual_cndmask_b32 v162, 0, v162 :: v_dual_and_b32 v161, 0x7fffff, v96
	s_delay_alu instid0(VALU_DEP_1) | instskip(SKIP_2) | instid1(VALU_DEP_4)
	v_or_b32_e32 v163, 0x800000, v161
	v_cmp_eq_u32_e32 vcc_lo, 0, v19
	v_add_nc_u32_e32 v19, 0xffffff89, v19
	v_cndmask_b32_e64 v162, v162, 0x77, vcc_lo
	s_delay_alu instid0(VALU_DEP_2) | instskip(SKIP_1) | instid1(VALU_DEP_3)
	v_cndmask_b32_e64 v19, v19, 0xffffff8a, vcc_lo
	v_cndmask_b32_e32 v161, v163, v161, vcc_lo
	v_lshl_add_u32 v163, 0x100000, v162, -1
	v_lshlrev_b32_e64 v166, v162, 0x80000
	s_delay_alu instid0(VALU_DEP_3) | instskip(SKIP_1) | instid1(VALU_DEP_4)
	v_lshrrev_b32_e32 v164, v162, v161
	v_add_nc_u32_e32 v162, v162, v19
	v_and_b32_e32 v161, v163, v161
	s_delay_alu instid0(VALU_DEP_3) | instskip(NEXT) | instid1(VALU_DEP_2)
	v_bfe_u32 v165, v164, 20, 1
	v_cmp_eq_u32_e64 s8, v161, v166
	s_delay_alu instid0(VALU_DEP_2) | instskip(NEXT) | instid1(VALU_DEP_1)
	v_add_nc_u32_e32 v163, -1, v165
	v_cndmask_b32_e64 v161, 0, v163, s8
	v_lshrrev_b32_e32 v163, 23, v164
	s_mov_b32 s8, exec_lo
	s_delay_alu instid0(VALU_DEP_2) | instskip(NEXT) | instid1(VALU_DEP_2)
	v_add_nc_u32_e32 v161, v161, v164
	v_xor_b32_e32 v163, 1, v163
	s_delay_alu instid0(VALU_DEP_2) | instskip(NEXT) | instid1(VALU_DEP_1)
	v_and_b32_e32 v19, 0xfffff, v161
	v_add_nc_u32_e32 v161, v19, v164
                                        ; implicit-def: $vgpr19
	s_delay_alu instid0(VALU_DEP_3)
	v_cmpx_ne_u32_e64 v162, v163
	s_xor_b32 s8, exec_lo, s8
; %bb.439:                              ;   in Loop: Header=BB4_266 Depth=3
	s_delay_alu instid0(VALU_DEP_2) | instskip(SKIP_2) | instid1(VALU_DEP_2)
	v_cmp_lt_u32_e32 vcc_lo, 0xffffff, v161
	v_sub_nc_u32_e32 v19, v162, v163
	v_cndmask_b32_e64 v162, 0, 1, vcc_lo
	v_add_co_ci_u32_e32 v19, vcc_lo, 0, v19, vcc_lo
	s_delay_alu instid0(VALU_DEP_2)
	v_lshrrev_b32_e32 v161, v162, v161
; %bb.440:                              ;   in Loop: Header=BB4_266 Depth=3
	s_and_not1_saveexec_b32 s8, s8
; %bb.441:                              ;   in Loop: Header=BB4_266 Depth=3
	s_delay_alu instid0(VALU_DEP_1)
	v_bfe_u32 v19, v161, 23, 1
; %bb.442:                              ;   in Loop: Header=BB4_266 Depth=3
	s_or_b32 exec_lo, exec_lo, s8
	v_lshrrev_b32_e32 v161, 20, v161
	s_delay_alu instid0(VALU_DEP_2) | instskip(SKIP_2) | instid1(VALU_DEP_2)
	v_cmp_gt_i32_e32 vcc_lo, 16, v19
	v_lshrrev_b32_e32 v96, 24, v96
	v_min_i32_e32 v162, 15, v19
	v_dual_cndmask_b32 v161, 7, v161 :: v_dual_and_b32 v96, 0x80, v96
	s_delay_alu instid0(VALU_DEP_1) | instskip(SKIP_1) | instid1(VALU_DEP_2)
	v_or_b32_e32 v19, v19, v161
	v_and_b32_e32 v163, 7, v161
	v_cmp_ne_u32_e32 vcc_lo, 0, v19
	v_lshlrev_b32_e32 v162, 3, v162
	s_delay_alu instid0(VALU_DEP_1) | instskip(NEXT) | instid1(VALU_DEP_1)
	v_or3_b32 v96, v162, v96, v163
	v_cndmask_b32_e32 v19, 0, v96, vcc_lo
.LBB4_443:                              ;   in Loop: Header=BB4_266 Depth=3
	s_or_b32 exec_lo, exec_lo, s20
.LBB4_444:                              ;   in Loop: Header=BB4_266 Depth=3
	s_delay_alu instid0(SALU_CYCLE_1) | instskip(SKIP_3) | instid1(VALU_DEP_1)
	s_or_b32 exec_lo, exec_lo, s9
	v_and_b32_e32 v96, 0xff, v21
	s_mov_b32 s8, 0
	s_mov_b32 s20, exec_lo
                                        ; implicit-def: $sgpr9
	v_cmpx_lt_i16_e32 0x7f, v96
	s_xor_b32 s20, exec_lo, s20
	s_cbranch_execnz .LBB4_570
; %bb.445:                              ;   in Loop: Header=BB4_266 Depth=3
	s_or_saveexec_b32 s20, s20
	v_mov_b32_e32 v162, s9
	s_xor_b32 exec_lo, exec_lo, s20
	s_cbranch_execnz .LBB4_573
.LBB4_446:                              ;   in Loop: Header=BB4_266 Depth=3
	s_or_b32 exec_lo, exec_lo, s20
	s_and_saveexec_b32 s9, s8
	s_cbranch_execz .LBB4_448
.LBB4_447:                              ;   in Loop: Header=BB4_266 Depth=3
	v_and_b32_e32 v96, 7, v21
	v_bfe_u32 v163, v21, 3, 4
	v_lshlrev_b32_e32 v164, 24, v21
	s_delay_alu instid0(VALU_DEP_3) | instskip(NEXT) | instid1(VALU_DEP_3)
	v_clz_i32_u32_e32 v161, v96
	v_cmp_eq_u32_e32 vcc_lo, 0, v163
	s_delay_alu instid0(VALU_DEP_2) | instskip(NEXT) | instid1(VALU_DEP_1)
	v_min_u32_e32 v161, 32, v161
	v_subrev_nc_u32_e32 v162, 28, v161
	v_sub_nc_u32_e32 v161, 29, v161
	s_delay_alu instid0(VALU_DEP_2) | instskip(NEXT) | instid1(VALU_DEP_1)
	v_lshlrev_b32_e32 v162, v162, v21
	v_dual_cndmask_b32 v161, v163, v161 :: v_dual_and_b32 v162, 7, v162
	s_delay_alu instid0(VALU_DEP_1) | instskip(NEXT) | instid1(VALU_DEP_2)
	v_lshl_add_u32 v161, v161, 23, 0x3b800000
	v_cndmask_b32_e32 v96, v96, v162, vcc_lo
	v_and_b32_e32 v162, 0x80000000, v164
	s_delay_alu instid0(VALU_DEP_2) | instskip(NEXT) | instid1(VALU_DEP_1)
	v_lshlrev_b32_e32 v96, 20, v96
	v_or3_b32 v162, v162, v161, v96
.LBB4_448:                              ;   in Loop: Header=BB4_266 Depth=3
	s_or_b32 exec_lo, exec_lo, s9
	v_or_b32_e32 v96, v160, v22
	v_mov_b32_e32 v161, v21
	s_mov_b32 s8, 0
	s_mov_b32 s20, exec_lo
                                        ; implicit-def: $sgpr9
	s_delay_alu instid0(VALU_DEP_2) | instskip(NEXT) | instid1(VALU_DEP_1)
	v_and_b32_e32 v160, 0xff, v96
	v_cmpx_lt_i16_e64 0x7f, v160
	s_xor_b32 s20, exec_lo, s20
	s_cbranch_execnz .LBB4_574
; %bb.449:                              ;   in Loop: Header=BB4_266 Depth=3
	s_or_saveexec_b32 s20, s20
	v_mov_b32_e32 v22, s9
	s_xor_b32 exec_lo, exec_lo, s20
	s_cbranch_execnz .LBB4_577
.LBB4_450:                              ;   in Loop: Header=BB4_266 Depth=3
	s_or_b32 exec_lo, exec_lo, s20
	s_and_saveexec_b32 s9, s8
	s_cbranch_execz .LBB4_452
.LBB4_451:                              ;   in Loop: Header=BB4_266 Depth=3
	v_and_b32_e32 v22, 7, v96
	v_bfe_u32 v164, v96, 3, 4
	s_delay_alu instid0(VALU_DEP_2) | instskip(NEXT) | instid1(VALU_DEP_2)
	v_clz_i32_u32_e32 v160, v22
	v_cmp_eq_u32_e32 vcc_lo, 0, v164
	s_delay_alu instid0(VALU_DEP_2) | instskip(NEXT) | instid1(VALU_DEP_1)
	v_min_u32_e32 v160, 32, v160
	v_subrev_nc_u32_e32 v163, 28, v160
	v_sub_nc_u32_e32 v160, 29, v160
	s_delay_alu instid0(VALU_DEP_2) | instskip(NEXT) | instid1(VALU_DEP_1)
	v_lshlrev_b32_e32 v163, v163, v96
	v_dual_cndmask_b32 v160, v164, v160 :: v_dual_and_b32 v163, 7, v163
	v_lshlrev_b32_e32 v165, 24, v96
	s_delay_alu instid0(VALU_DEP_2) | instskip(NEXT) | instid1(VALU_DEP_2)
	v_lshl_add_u32 v160, v160, 23, 0x3b800000
	v_dual_cndmask_b32 v22, v22, v163 :: v_dual_and_b32 v163, 0x80000000, v165
	s_delay_alu instid0(VALU_DEP_1) | instskip(NEXT) | instid1(VALU_DEP_1)
	v_lshlrev_b32_e32 v22, 20, v22
	v_or3_b32 v22, v163, v160, v22
.LBB4_452:                              ;   in Loop: Header=BB4_266 Depth=3
	s_or_b32 exec_lo, exec_lo, s9
	s_delay_alu instid0(VALU_DEP_1) | instskip(NEXT) | instid1(VALU_DEP_1)
	v_add_f32_e32 v160, v162, v22
	v_and_b32_e32 v22, 0x7f800000, v160
	s_delay_alu instid0(VALU_DEP_1)
	v_cmp_ne_u32_e32 vcc_lo, 0x7f800000, v22
	v_mov_b32_e32 v22, 0x80
	s_and_saveexec_b32 s9, vcc_lo
	s_cbranch_execz .LBB4_460
; %bb.453:                              ;   in Loop: Header=BB4_266 Depth=3
	v_mov_b32_e32 v22, 0
	s_mov_b32 s20, exec_lo
	v_cmpx_ne_u32_e32 0, v160
	s_cbranch_execz .LBB4_459
; %bb.454:                              ;   in Loop: Header=BB4_266 Depth=3
	v_bfe_u32 v22, v160, 23, 8
	s_delay_alu instid0(VALU_DEP_1) | instskip(SKIP_1) | instid1(VALU_DEP_2)
	v_sub_nc_u32_e32 v163, 0x78, v22
	v_cmp_gt_u32_e32 vcc_lo, 0x79, v22
	v_dual_cndmask_b32 v163, 0, v163 :: v_dual_and_b32 v162, 0x7fffff, v160
	s_delay_alu instid0(VALU_DEP_1) | instskip(SKIP_2) | instid1(VALU_DEP_4)
	v_or_b32_e32 v164, 0x800000, v162
	v_cmp_eq_u32_e32 vcc_lo, 0, v22
	v_add_nc_u32_e32 v22, 0xffffff89, v22
	v_cndmask_b32_e64 v163, v163, 0x77, vcc_lo
	s_delay_alu instid0(VALU_DEP_4) | instskip(NEXT) | instid1(VALU_DEP_3)
	v_cndmask_b32_e32 v162, v164, v162, vcc_lo
	v_cndmask_b32_e64 v22, v22, 0xffffff8a, vcc_lo
	s_delay_alu instid0(VALU_DEP_3) | instskip(NEXT) | instid1(VALU_DEP_3)
	v_lshl_add_u32 v164, 0x100000, v163, -1
	v_lshrrev_b32_e32 v165, v163, v162
	v_lshlrev_b32_e64 v167, v163, 0x80000
	s_delay_alu instid0(VALU_DEP_4) | instskip(NEXT) | instid1(VALU_DEP_4)
	v_add_nc_u32_e32 v163, v163, v22
	v_and_b32_e32 v162, v164, v162
	s_delay_alu instid0(VALU_DEP_4) | instskip(NEXT) | instid1(VALU_DEP_2)
	v_bfe_u32 v166, v165, 20, 1
	v_cmp_eq_u32_e64 s8, v162, v167
	s_delay_alu instid0(VALU_DEP_2) | instskip(NEXT) | instid1(VALU_DEP_1)
	v_add_nc_u32_e32 v164, -1, v166
	v_cndmask_b32_e64 v162, 0, v164, s8
	v_lshrrev_b32_e32 v164, 23, v165
	s_mov_b32 s8, exec_lo
	s_delay_alu instid0(VALU_DEP_2) | instskip(NEXT) | instid1(VALU_DEP_2)
	v_add_nc_u32_e32 v162, v162, v165
	v_xor_b32_e32 v164, 1, v164
	s_delay_alu instid0(VALU_DEP_2) | instskip(NEXT) | instid1(VALU_DEP_1)
	v_and_b32_e32 v22, 0xfffff, v162
	v_add_nc_u32_e32 v162, v22, v165
                                        ; implicit-def: $vgpr22
	s_delay_alu instid0(VALU_DEP_3)
	v_cmpx_ne_u32_e64 v163, v164
	s_xor_b32 s8, exec_lo, s8
; %bb.455:                              ;   in Loop: Header=BB4_266 Depth=3
	s_delay_alu instid0(VALU_DEP_2) | instskip(SKIP_2) | instid1(VALU_DEP_2)
	v_cmp_lt_u32_e32 vcc_lo, 0xffffff, v162
	v_sub_nc_u32_e32 v22, v163, v164
	v_cndmask_b32_e64 v163, 0, 1, vcc_lo
	v_add_co_ci_u32_e32 v22, vcc_lo, 0, v22, vcc_lo
	s_delay_alu instid0(VALU_DEP_2)
	v_lshrrev_b32_e32 v162, v163, v162
; %bb.456:                              ;   in Loop: Header=BB4_266 Depth=3
	s_and_not1_saveexec_b32 s8, s8
; %bb.457:                              ;   in Loop: Header=BB4_266 Depth=3
	s_delay_alu instid0(VALU_DEP_1)
	v_bfe_u32 v22, v162, 23, 1
; %bb.458:                              ;   in Loop: Header=BB4_266 Depth=3
	s_or_b32 exec_lo, exec_lo, s8
	v_lshrrev_b32_e32 v162, 20, v162
	s_delay_alu instid0(VALU_DEP_2) | instskip(SKIP_2) | instid1(VALU_DEP_4)
	v_cmp_gt_i32_e32 vcc_lo, 16, v22
	v_lshrrev_b32_e32 v160, 24, v160
	v_min_i32_e32 v163, 15, v22
	v_cndmask_b32_e32 v162, 7, v162, vcc_lo
	s_delay_alu instid0(VALU_DEP_3) | instskip(NEXT) | instid1(VALU_DEP_3)
	v_and_b32_e32 v160, 0x80, v160
	v_lshlrev_b32_e32 v163, 3, v163
	s_delay_alu instid0(VALU_DEP_3) | instskip(SKIP_1) | instid1(VALU_DEP_2)
	v_and_b32_e32 v164, 7, v162
	v_or_b32_e32 v22, v22, v162
	v_or3_b32 v160, v163, v160, v164
	s_delay_alu instid0(VALU_DEP_2) | instskip(NEXT) | instid1(VALU_DEP_2)
	v_cmp_ne_u32_e32 vcc_lo, 0, v22
	v_cndmask_b32_e32 v22, 0, v160, vcc_lo
.LBB4_459:                              ;   in Loop: Header=BB4_266 Depth=3
	s_or_b32 exec_lo, exec_lo, s20
.LBB4_460:                              ;   in Loop: Header=BB4_266 Depth=3
	s_delay_alu instid0(SALU_CYCLE_1) | instskip(SKIP_3) | instid1(VALU_DEP_1)
	s_or_b32 exec_lo, exec_lo, s9
	v_lshrrev_b16 v161, 8, v161
	s_mov_b32 s8, 0
	s_mov_b32 s20, exec_lo
                                        ; implicit-def: $sgpr9
	v_cmpx_lt_i16_e64 0x7f, v161
	s_xor_b32 s20, exec_lo, s20
	s_cbranch_execnz .LBB4_578
; %bb.461:                              ;   in Loop: Header=BB4_266 Depth=3
	s_or_saveexec_b32 s20, s20
	v_mov_b32_e32 v160, s9
	s_xor_b32 exec_lo, exec_lo, s20
	s_cbranch_execnz .LBB4_581
.LBB4_462:                              ;   in Loop: Header=BB4_266 Depth=3
	s_or_b32 exec_lo, exec_lo, s20
	s_and_saveexec_b32 s9, s8
	s_cbranch_execz .LBB4_464
.LBB4_463:                              ;   in Loop: Header=BB4_266 Depth=3
	v_and_b32_e32 v160, 0xffff, v161
	s_delay_alu instid0(VALU_DEP_1) | instskip(NEXT) | instid1(VALU_DEP_1)
	v_and_b32_e32 v162, 7, v160
	v_clz_i32_u32_e32 v163, v162
	s_delay_alu instid0(VALU_DEP_1) | instskip(NEXT) | instid1(VALU_DEP_1)
	v_min_u32_e32 v163, 32, v163
	v_subrev_nc_u32_e32 v164, 28, v163
	v_sub_nc_u32_e32 v163, 29, v163
	s_delay_alu instid0(VALU_DEP_2) | instskip(SKIP_1) | instid1(VALU_DEP_2)
	v_lshlrev_b32_e32 v164, v164, v160
	v_bfe_u32 v160, v160, 3, 4
	v_and_b32_e32 v164, 7, v164
	s_delay_alu instid0(VALU_DEP_2) | instskip(SKIP_1) | instid1(VALU_DEP_1)
	v_cmp_eq_u32_e32 vcc_lo, 0, v160
	v_dual_cndmask_b32 v160, v160, v163 :: v_dual_lshlrev_b32 v161, 24, v161
	v_dual_cndmask_b32 v162, v162, v164 :: v_dual_and_b32 v161, 0x80000000, v161
	s_delay_alu instid0(VALU_DEP_2) | instskip(NEXT) | instid1(VALU_DEP_2)
	v_lshl_add_u32 v160, v160, 23, 0x3b800000
	v_lshlrev_b32_e32 v162, 20, v162
	s_delay_alu instid0(VALU_DEP_1)
	v_or3_b32 v160, v161, v160, v162
.LBB4_464:                              ;   in Loop: Header=BB4_266 Depth=3
	s_or_b32 exec_lo, exec_lo, s9
	v_lshrrev_b16 v161, 8, v96
	s_mov_b32 s8, 0
	s_mov_b32 s20, exec_lo
                                        ; implicit-def: $sgpr9
	s_delay_alu instid0(VALU_DEP_1)
	v_cmpx_lt_i16_e64 0x7f, v161
	s_xor_b32 s20, exec_lo, s20
	s_cbranch_execnz .LBB4_582
; %bb.465:                              ;   in Loop: Header=BB4_266 Depth=3
	s_or_saveexec_b32 s20, s20
	v_mov_b32_e32 v162, s9
	s_xor_b32 exec_lo, exec_lo, s20
	s_cbranch_execnz .LBB4_585
.LBB4_466:                              ;   in Loop: Header=BB4_266 Depth=3
	s_or_b32 exec_lo, exec_lo, s20
	s_and_saveexec_b32 s9, s8
	s_cbranch_execz .LBB4_468
.LBB4_467:                              ;   in Loop: Header=BB4_266 Depth=3
	v_and_b32_e32 v162, 0xffff, v161
	v_lshlrev_b32_e32 v161, 24, v161
	s_delay_alu instid0(VALU_DEP_2) | instskip(NEXT) | instid1(VALU_DEP_2)
	v_and_b32_e32 v163, 7, v162
	v_and_b32_e32 v161, 0x80000000, v161
	s_delay_alu instid0(VALU_DEP_2) | instskip(NEXT) | instid1(VALU_DEP_1)
	v_clz_i32_u32_e32 v164, v163
	v_min_u32_e32 v164, 32, v164
	s_delay_alu instid0(VALU_DEP_1) | instskip(SKIP_1) | instid1(VALU_DEP_2)
	v_subrev_nc_u32_e32 v165, 28, v164
	v_sub_nc_u32_e32 v164, 29, v164
	v_lshlrev_b32_e32 v165, v165, v162
	v_bfe_u32 v162, v162, 3, 4
	s_delay_alu instid0(VALU_DEP_2) | instskip(NEXT) | instid1(VALU_DEP_2)
	v_and_b32_e32 v165, 7, v165
	v_cmp_eq_u32_e32 vcc_lo, 0, v162
	s_delay_alu instid0(VALU_DEP_2) | instskip(NEXT) | instid1(VALU_DEP_1)
	v_dual_cndmask_b32 v162, v162, v164 :: v_dual_cndmask_b32 v163, v163, v165
	v_lshl_add_u32 v162, v162, 23, 0x3b800000
	s_delay_alu instid0(VALU_DEP_2) | instskip(NEXT) | instid1(VALU_DEP_1)
	v_lshlrev_b32_e32 v163, 20, v163
	v_or3_b32 v162, v161, v162, v163
.LBB4_468:                              ;   in Loop: Header=BB4_266 Depth=3
	s_or_b32 exec_lo, exec_lo, s9
	s_delay_alu instid0(VALU_DEP_1) | instskip(NEXT) | instid1(VALU_DEP_1)
	v_add_f32_e32 v161, v160, v162
	v_and_b32_e32 v160, 0x7f800000, v161
	s_delay_alu instid0(VALU_DEP_1)
	v_cmp_ne_u32_e32 vcc_lo, 0x7f800000, v160
	v_mov_b32_e32 v160, 0x8000
	s_and_saveexec_b32 s9, vcc_lo
	s_cbranch_execz .LBB4_476
; %bb.469:                              ;   in Loop: Header=BB4_266 Depth=3
	v_mov_b32_e32 v160, 0
	s_mov_b32 s20, exec_lo
	v_cmpx_ne_u32_e32 0, v161
	s_cbranch_execz .LBB4_475
; %bb.470:                              ;   in Loop: Header=BB4_266 Depth=3
	v_bfe_u32 v160, v161, 23, 8
	s_delay_alu instid0(VALU_DEP_1) | instskip(SKIP_1) | instid1(VALU_DEP_2)
	v_sub_nc_u32_e32 v163, 0x78, v160
	v_cmp_gt_u32_e32 vcc_lo, 0x79, v160
	v_dual_cndmask_b32 v163, 0, v163 :: v_dual_and_b32 v162, 0x7fffff, v161
	s_delay_alu instid0(VALU_DEP_1) | instskip(SKIP_2) | instid1(VALU_DEP_4)
	v_or_b32_e32 v164, 0x800000, v162
	v_cmp_eq_u32_e32 vcc_lo, 0, v160
	v_add_nc_u32_e32 v160, 0xffffff89, v160
	v_cndmask_b32_e64 v163, v163, 0x77, vcc_lo
	s_delay_alu instid0(VALU_DEP_2) | instskip(SKIP_1) | instid1(VALU_DEP_3)
	v_cndmask_b32_e64 v160, v160, 0xffffff8a, vcc_lo
	v_cndmask_b32_e32 v162, v164, v162, vcc_lo
	v_lshl_add_u32 v164, 0x100000, v163, -1
	v_lshlrev_b32_e64 v167, v163, 0x80000
	s_delay_alu instid0(VALU_DEP_3) | instskip(SKIP_1) | instid1(VALU_DEP_4)
	v_lshrrev_b32_e32 v165, v163, v162
	v_add_nc_u32_e32 v163, v163, v160
	v_and_b32_e32 v162, v164, v162
	s_delay_alu instid0(VALU_DEP_3) | instskip(NEXT) | instid1(VALU_DEP_2)
	v_bfe_u32 v166, v165, 20, 1
	v_cmp_eq_u32_e64 s8, v162, v167
	s_delay_alu instid0(VALU_DEP_2) | instskip(NEXT) | instid1(VALU_DEP_1)
	v_add_nc_u32_e32 v164, -1, v166
	v_cndmask_b32_e64 v162, 0, v164, s8
	v_lshrrev_b32_e32 v164, 23, v165
	s_mov_b32 s8, exec_lo
	s_delay_alu instid0(VALU_DEP_2) | instskip(NEXT) | instid1(VALU_DEP_2)
	v_add_nc_u32_e32 v162, v162, v165
	v_xor_b32_e32 v164, 1, v164
	s_delay_alu instid0(VALU_DEP_2) | instskip(NEXT) | instid1(VALU_DEP_1)
	v_and_b32_e32 v160, 0xfffff, v162
	v_add_nc_u32_e32 v162, v160, v165
                                        ; implicit-def: $vgpr160
	s_delay_alu instid0(VALU_DEP_3)
	v_cmpx_ne_u32_e64 v163, v164
	s_xor_b32 s8, exec_lo, s8
; %bb.471:                              ;   in Loop: Header=BB4_266 Depth=3
	s_delay_alu instid0(VALU_DEP_2) | instskip(SKIP_2) | instid1(VALU_DEP_2)
	v_cmp_lt_u32_e32 vcc_lo, 0xffffff, v162
	v_sub_nc_u32_e32 v160, v163, v164
	v_cndmask_b32_e64 v163, 0, 1, vcc_lo
	v_add_co_ci_u32_e32 v160, vcc_lo, 0, v160, vcc_lo
	s_delay_alu instid0(VALU_DEP_2)
	v_lshrrev_b32_e32 v162, v163, v162
; %bb.472:                              ;   in Loop: Header=BB4_266 Depth=3
	s_and_not1_saveexec_b32 s8, s8
; %bb.473:                              ;   in Loop: Header=BB4_266 Depth=3
	s_delay_alu instid0(VALU_DEP_1)
	v_bfe_u32 v160, v162, 23, 1
; %bb.474:                              ;   in Loop: Header=BB4_266 Depth=3
	s_or_b32 exec_lo, exec_lo, s8
	v_lshrrev_b32_e32 v162, 20, v162
	s_delay_alu instid0(VALU_DEP_2) | instskip(SKIP_2) | instid1(VALU_DEP_2)
	v_cmp_gt_i32_e32 vcc_lo, 16, v160
	v_min_i32_e32 v163, 15, v160
	v_lshrrev_b32_e32 v161, 24, v161
	v_dual_cndmask_b32 v162, 7, v162 :: v_dual_lshlrev_b32 v163, 3, v163
	s_delay_alu instid0(VALU_DEP_2) | instskip(NEXT) | instid1(VALU_DEP_2)
	v_and_b32_e32 v161, 0x80, v161
	v_or_b32_e32 v160, v160, v162
	v_and_b32_e32 v164, 7, v162
	s_delay_alu instid0(VALU_DEP_2) | instskip(SKIP_1) | instid1(VALU_DEP_1)
	v_cmp_ne_u32_e32 vcc_lo, 0, v160
	v_and_b32_e32 v163, 0xf8, v163
	v_or3_b32 v161, v161, v163, v164
	s_delay_alu instid0(VALU_DEP_1) | instskip(NEXT) | instid1(VALU_DEP_1)
	v_lshlrev_b32_e32 v161, 8, v161
	v_cndmask_b32_e32 v160, 0, v161, vcc_lo
.LBB4_475:                              ;   in Loop: Header=BB4_266 Depth=3
	s_or_b32 exec_lo, exec_lo, s20
.LBB4_476:                              ;   in Loop: Header=BB4_266 Depth=3
	s_delay_alu instid0(SALU_CYCLE_1) | instskip(SKIP_3) | instid1(VALU_DEP_1)
	s_or_b32 exec_lo, exec_lo, s9
	v_lshrrev_b32_e32 v162, 16, v21
	s_mov_b32 s8, 0
	s_mov_b32 s20, exec_lo
                                        ; implicit-def: $sgpr9
	v_and_b32_e32 v163, 0xff, v162
	s_delay_alu instid0(VALU_DEP_1)
	v_cmpx_lt_i16_e64 0x7f, v163
	s_xor_b32 s20, exec_lo, s20
	s_cbranch_execnz .LBB4_586
; %bb.477:                              ;   in Loop: Header=BB4_266 Depth=3
	s_or_saveexec_b32 s20, s20
	v_mov_b32_e32 v161, s9
	s_xor_b32 exec_lo, exec_lo, s20
	s_cbranch_execnz .LBB4_589
.LBB4_478:                              ;   in Loop: Header=BB4_266 Depth=3
	s_or_b32 exec_lo, exec_lo, s20
	s_and_saveexec_b32 s9, s8
	s_cbranch_execz .LBB4_480
.LBB4_479:                              ;   in Loop: Header=BB4_266 Depth=3
	v_bfe_u32 v161, v21, 16, 3
	v_lshlrev_b32_e32 v165, 8, v21
	s_delay_alu instid0(VALU_DEP_2) | instskip(NEXT) | instid1(VALU_DEP_1)
	v_clz_i32_u32_e32 v163, v161
	v_min_u32_e32 v163, 32, v163
	s_delay_alu instid0(VALU_DEP_1) | instskip(SKIP_1) | instid1(VALU_DEP_2)
	v_subrev_nc_u32_e32 v164, 28, v163
	v_sub_nc_u32_e32 v163, 29, v163
	v_lshlrev_b32_e32 v162, v164, v162
	v_bfe_u32 v164, v21, 19, 4
	s_delay_alu instid0(VALU_DEP_1) | instskip(NEXT) | instid1(VALU_DEP_3)
	v_cmp_eq_u32_e32 vcc_lo, 0, v164
	v_dual_cndmask_b32 v163, v164, v163 :: v_dual_and_b32 v162, 7, v162
	s_delay_alu instid0(VALU_DEP_1) | instskip(NEXT) | instid1(VALU_DEP_2)
	v_dual_cndmask_b32 v161, v161, v162 :: v_dual_and_b32 v162, 0x80000000, v165
	v_lshl_add_u32 v163, v163, 23, 0x3b800000
	s_delay_alu instid0(VALU_DEP_2) | instskip(NEXT) | instid1(VALU_DEP_1)
	v_lshlrev_b32_e32 v161, 20, v161
	v_or3_b32 v161, v162, v163, v161
.LBB4_480:                              ;   in Loop: Header=BB4_266 Depth=3
	s_or_b32 exec_lo, exec_lo, s9
	v_or_b32_e32 v20, v83, v20
	s_mov_b32 s8, 0
	s_mov_b32 s20, exec_lo
                                        ; implicit-def: $sgpr9
	s_delay_alu instid0(VALU_DEP_1) | instskip(NEXT) | instid1(VALU_DEP_1)
	v_and_b32_e32 v83, 0xff, v20
	v_cmpx_lt_i16_e32 0x7f, v83
	s_xor_b32 s20, exec_lo, s20
	s_cbranch_execnz .LBB4_590
; %bb.481:                              ;   in Loop: Header=BB4_266 Depth=3
	s_or_saveexec_b32 s20, s20
	v_mov_b32_e32 v162, s9
	s_xor_b32 exec_lo, exec_lo, s20
	s_cbranch_execnz .LBB4_593
.LBB4_482:                              ;   in Loop: Header=BB4_266 Depth=3
	s_or_b32 exec_lo, exec_lo, s20
	v_lshl_or_b32 v83, v20, 16, v96
	s_and_saveexec_b32 s9, s8
	s_cbranch_execz .LBB4_484
.LBB4_483:                              ;   in Loop: Header=BB4_266 Depth=3
	s_delay_alu instid0(VALU_DEP_1) | instskip(SKIP_2) | instid1(VALU_DEP_3)
	v_bfe_u32 v20, v83, 16, 3
	v_lshrrev_b32_e32 v162, 16, v83
	v_lshlrev_b32_e32 v164, 8, v83
	v_clz_i32_u32_e32 v96, v20
	s_delay_alu instid0(VALU_DEP_1) | instskip(NEXT) | instid1(VALU_DEP_1)
	v_min_u32_e32 v96, 32, v96
	v_subrev_nc_u32_e32 v163, 28, v96
	v_sub_nc_u32_e32 v96, 29, v96
	s_delay_alu instid0(VALU_DEP_2) | instskip(SKIP_1) | instid1(VALU_DEP_2)
	v_lshlrev_b32_e32 v162, v163, v162
	v_bfe_u32 v163, v83, 19, 4
	v_and_b32_e32 v162, 7, v162
	s_delay_alu instid0(VALU_DEP_2) | instskip(SKIP_1) | instid1(VALU_DEP_3)
	v_cmp_eq_u32_e32 vcc_lo, 0, v163
	v_cndmask_b32_e32 v96, v163, v96, vcc_lo
	v_cndmask_b32_e32 v20, v20, v162, vcc_lo
	v_and_b32_e32 v162, 0x80000000, v164
	s_delay_alu instid0(VALU_DEP_3) | instskip(NEXT) | instid1(VALU_DEP_3)
	v_lshl_add_u32 v96, v96, 23, 0x3b800000
	v_lshlrev_b32_e32 v20, 20, v20
	s_delay_alu instid0(VALU_DEP_1)
	v_or3_b32 v162, v162, v96, v20
.LBB4_484:                              ;   in Loop: Header=BB4_266 Depth=3
	s_or_b32 exec_lo, exec_lo, s9
	s_delay_alu instid0(VALU_DEP_1) | instskip(NEXT) | instid1(VALU_DEP_1)
	v_add_f32_e32 v96, v161, v162
	v_and_b32_e32 v20, 0x7f800000, v96
	s_delay_alu instid0(VALU_DEP_1)
	v_cmp_ne_u32_e32 vcc_lo, 0x7f800000, v20
	v_mov_b32_e32 v20, 0x80
	s_and_saveexec_b32 s9, vcc_lo
	s_cbranch_execz .LBB4_492
; %bb.485:                              ;   in Loop: Header=BB4_266 Depth=3
	v_mov_b32_e32 v20, 0
	s_mov_b32 s20, exec_lo
	v_cmpx_ne_u32_e32 0, v96
	s_cbranch_execz .LBB4_491
; %bb.486:                              ;   in Loop: Header=BB4_266 Depth=3
	v_bfe_u32 v20, v96, 23, 8
	s_delay_alu instid0(VALU_DEP_1) | instskip(SKIP_1) | instid1(VALU_DEP_2)
	v_sub_nc_u32_e32 v162, 0x78, v20
	v_cmp_gt_u32_e32 vcc_lo, 0x79, v20
	v_dual_cndmask_b32 v162, 0, v162 :: v_dual_and_b32 v161, 0x7fffff, v96
	s_delay_alu instid0(VALU_DEP_1) | instskip(SKIP_2) | instid1(VALU_DEP_4)
	v_or_b32_e32 v163, 0x800000, v161
	v_cmp_eq_u32_e32 vcc_lo, 0, v20
	v_add_nc_u32_e32 v20, 0xffffff89, v20
	v_cndmask_b32_e64 v162, v162, 0x77, vcc_lo
	s_delay_alu instid0(VALU_DEP_4) | instskip(NEXT) | instid1(VALU_DEP_3)
	v_cndmask_b32_e32 v161, v163, v161, vcc_lo
	v_cndmask_b32_e64 v20, v20, 0xffffff8a, vcc_lo
	s_delay_alu instid0(VALU_DEP_3) | instskip(NEXT) | instid1(VALU_DEP_3)
	v_lshl_add_u32 v163, 0x100000, v162, -1
	v_lshrrev_b32_e32 v164, v162, v161
	v_lshlrev_b32_e64 v166, v162, 0x80000
	s_delay_alu instid0(VALU_DEP_4) | instskip(NEXT) | instid1(VALU_DEP_4)
	v_add_nc_u32_e32 v162, v162, v20
	v_and_b32_e32 v161, v163, v161
	s_delay_alu instid0(VALU_DEP_4) | instskip(NEXT) | instid1(VALU_DEP_2)
	v_bfe_u32 v165, v164, 20, 1
	v_cmp_eq_u32_e64 s8, v161, v166
	s_delay_alu instid0(VALU_DEP_2) | instskip(NEXT) | instid1(VALU_DEP_1)
	v_add_nc_u32_e32 v163, -1, v165
	v_cndmask_b32_e64 v161, 0, v163, s8
	v_lshrrev_b32_e32 v163, 23, v164
	s_mov_b32 s8, exec_lo
	s_delay_alu instid0(VALU_DEP_2) | instskip(NEXT) | instid1(VALU_DEP_2)
	v_add_nc_u32_e32 v161, v161, v164
	v_xor_b32_e32 v163, 1, v163
	s_delay_alu instid0(VALU_DEP_2) | instskip(NEXT) | instid1(VALU_DEP_1)
	v_and_b32_e32 v20, 0xfffff, v161
	v_add_nc_u32_e32 v161, v20, v164
                                        ; implicit-def: $vgpr20
	s_delay_alu instid0(VALU_DEP_3)
	v_cmpx_ne_u32_e64 v162, v163
	s_xor_b32 s8, exec_lo, s8
; %bb.487:                              ;   in Loop: Header=BB4_266 Depth=3
	s_delay_alu instid0(VALU_DEP_2) | instskip(SKIP_2) | instid1(VALU_DEP_2)
	v_cmp_lt_u32_e32 vcc_lo, 0xffffff, v161
	v_sub_nc_u32_e32 v20, v162, v163
	v_cndmask_b32_e64 v162, 0, 1, vcc_lo
	v_add_co_ci_u32_e32 v20, vcc_lo, 0, v20, vcc_lo
	s_delay_alu instid0(VALU_DEP_2)
	v_lshrrev_b32_e32 v161, v162, v161
; %bb.488:                              ;   in Loop: Header=BB4_266 Depth=3
	s_and_not1_saveexec_b32 s8, s8
; %bb.489:                              ;   in Loop: Header=BB4_266 Depth=3
	s_delay_alu instid0(VALU_DEP_1)
	v_bfe_u32 v20, v161, 23, 1
; %bb.490:                              ;   in Loop: Header=BB4_266 Depth=3
	s_or_b32 exec_lo, exec_lo, s8
	v_lshrrev_b32_e32 v161, 20, v161
	s_delay_alu instid0(VALU_DEP_2) | instskip(SKIP_2) | instid1(VALU_DEP_2)
	v_cmp_gt_i32_e32 vcc_lo, 16, v20
	v_min_i32_e32 v162, 15, v20
	v_lshrrev_b32_e32 v96, 24, v96
	v_dual_cndmask_b32 v161, 7, v161 :: v_dual_lshlrev_b32 v162, 3, v162
	s_delay_alu instid0(VALU_DEP_2) | instskip(NEXT) | instid1(VALU_DEP_2)
	v_and_b32_e32 v96, 0x80, v96
	v_or_b32_e32 v20, v20, v161
	s_delay_alu instid0(VALU_DEP_3) | instskip(NEXT) | instid1(VALU_DEP_2)
	v_and_b32_e32 v162, 0xf8, v162
	v_cmp_ne_u32_e32 vcc_lo, 0, v20
	v_and_b32_e32 v163, 7, v161
	s_delay_alu instid0(VALU_DEP_1) | instskip(NEXT) | instid1(VALU_DEP_1)
	v_or3_b32 v96, v162, v96, v163
	v_cndmask_b32_e32 v20, 0, v96, vcc_lo
.LBB4_491:                              ;   in Loop: Header=BB4_266 Depth=3
	s_or_b32 exec_lo, exec_lo, s20
.LBB4_492:                              ;   in Loop: Header=BB4_266 Depth=3
	s_delay_alu instid0(SALU_CYCLE_1) | instskip(SKIP_3) | instid1(VALU_DEP_1)
	s_or_b32 exec_lo, exec_lo, s9
	v_lshrrev_b32_e32 v161, 24, v21
	s_mov_b32 s8, 0
	s_mov_b32 s20, exec_lo
                                        ; implicit-def: $sgpr9
	v_cmpx_lt_i16_e64 0x7f, v161
	s_xor_b32 s20, exec_lo, s20
	s_cbranch_execnz .LBB4_594
; %bb.493:                              ;   in Loop: Header=BB4_266 Depth=3
	s_or_saveexec_b32 s20, s20
	v_mov_b32_e32 v96, s9
	s_xor_b32 exec_lo, exec_lo, s20
	s_cbranch_execnz .LBB4_597
.LBB4_494:                              ;   in Loop: Header=BB4_266 Depth=3
	s_or_b32 exec_lo, exec_lo, s20
	s_and_saveexec_b32 s9, s8
	s_cbranch_execz .LBB4_496
.LBB4_495:                              ;   in Loop: Header=BB4_266 Depth=3
	v_bfe_u32 v96, v21, 24, 3
	s_delay_alu instid0(VALU_DEP_1) | instskip(NEXT) | instid1(VALU_DEP_1)
	v_clz_i32_u32_e32 v162, v96
	v_min_u32_e32 v162, 32, v162
	s_delay_alu instid0(VALU_DEP_1) | instskip(SKIP_1) | instid1(VALU_DEP_2)
	v_subrev_nc_u32_e32 v163, 28, v162
	v_sub_nc_u32_e32 v162, 29, v162
	v_lshlrev_b32_e32 v161, v163, v161
	v_bfe_u32 v163, v21, 27, 4
	v_and_b32_e32 v21, 0x80000000, v21
	s_delay_alu instid0(VALU_DEP_2) | instskip(NEXT) | instid1(VALU_DEP_4)
	v_cmp_eq_u32_e32 vcc_lo, 0, v163
	v_dual_cndmask_b32 v162, v163, v162 :: v_dual_and_b32 v161, 7, v161
	s_delay_alu instid0(VALU_DEP_1) | instskip(NEXT) | instid1(VALU_DEP_2)
	v_cndmask_b32_e32 v96, v96, v161, vcc_lo
	v_lshl_add_u32 v161, v162, 23, 0x3b800000
	s_delay_alu instid0(VALU_DEP_2) | instskip(NEXT) | instid1(VALU_DEP_1)
	v_lshlrev_b32_e32 v96, 20, v96
	v_or3_b32 v96, v21, v161, v96
.LBB4_496:                              ;   in Loop: Header=BB4_266 Depth=3
	s_or_b32 exec_lo, exec_lo, s9
	v_lshrrev_b32_e32 v21, 24, v83
	s_mov_b32 s8, 0
	s_mov_b32 s20, exec_lo
                                        ; implicit-def: $sgpr9
	s_delay_alu instid0(VALU_DEP_1)
	v_cmpx_lt_i16_e32 0x7f, v21
	s_xor_b32 s20, exec_lo, s20
	s_cbranch_execnz .LBB4_598
; %bb.497:                              ;   in Loop: Header=BB4_266 Depth=3
	s_or_saveexec_b32 s20, s20
	v_mov_b32_e32 v161, s9
	s_xor_b32 exec_lo, exec_lo, s20
	s_cbranch_execnz .LBB4_601
.LBB4_498:                              ;   in Loop: Header=BB4_266 Depth=3
	s_or_b32 exec_lo, exec_lo, s20
	s_and_saveexec_b32 s9, s8
	s_cbranch_execz .LBB4_500
.LBB4_499:                              ;   in Loop: Header=BB4_266 Depth=3
	v_bfe_u32 v161, v83, 24, 3
	s_delay_alu instid0(VALU_DEP_1) | instskip(NEXT) | instid1(VALU_DEP_1)
	v_clz_i32_u32_e32 v162, v161
	v_min_u32_e32 v162, 32, v162
	s_delay_alu instid0(VALU_DEP_1) | instskip(SKIP_1) | instid1(VALU_DEP_2)
	v_subrev_nc_u32_e32 v163, 28, v162
	v_sub_nc_u32_e32 v162, 29, v162
	v_lshlrev_b32_e32 v21, v163, v21
	v_bfe_u32 v163, v83, 27, 4
	v_and_b32_e32 v83, 0x80000000, v83
	s_delay_alu instid0(VALU_DEP_2) | instskip(NEXT) | instid1(VALU_DEP_4)
	v_cmp_eq_u32_e32 vcc_lo, 0, v163
	v_dual_cndmask_b32 v162, v163, v162 :: v_dual_and_b32 v21, 7, v21
	s_delay_alu instid0(VALU_DEP_1) | instskip(NEXT) | instid1(VALU_DEP_2)
	v_cndmask_b32_e32 v21, v161, v21, vcc_lo
	v_lshl_add_u32 v161, v162, 23, 0x3b800000
	s_delay_alu instid0(VALU_DEP_2) | instskip(NEXT) | instid1(VALU_DEP_1)
	v_lshlrev_b32_e32 v21, 20, v21
	v_or3_b32 v161, v83, v161, v21
.LBB4_500:                              ;   in Loop: Header=BB4_266 Depth=3
	s_or_b32 exec_lo, exec_lo, s9
	s_delay_alu instid0(VALU_DEP_1) | instskip(NEXT) | instid1(VALU_DEP_1)
	v_add_f32_e32 v21, v96, v161
	v_and_b32_e32 v83, 0x7f800000, v21
	s_delay_alu instid0(VALU_DEP_1)
	v_cmp_ne_u32_e32 vcc_lo, 0x7f800000, v83
	v_mov_b32_e32 v83, 0x8000
	s_and_saveexec_b32 s9, vcc_lo
	s_cbranch_execz .LBB4_265
; %bb.501:                              ;   in Loop: Header=BB4_266 Depth=3
	v_mov_b32_e32 v83, 0
	s_mov_b32 s20, exec_lo
	v_cmpx_ne_u32_e32 0, v21
	s_cbranch_execz .LBB4_264
; %bb.502:                              ;   in Loop: Header=BB4_266 Depth=3
	v_bfe_u32 v83, v21, 23, 8
	v_and_b32_e32 v96, 0x7fffff, v21
	s_delay_alu instid0(VALU_DEP_2) | instskip(SKIP_1) | instid1(VALU_DEP_3)
	v_sub_nc_u32_e32 v161, 0x78, v83
	v_cmp_gt_u32_e32 vcc_lo, 0x79, v83
	v_or_b32_e32 v162, 0x800000, v96
	s_delay_alu instid0(VALU_DEP_3) | instskip(SKIP_1) | instid1(VALU_DEP_3)
	v_cndmask_b32_e32 v161, 0, v161, vcc_lo
	v_cmp_eq_u32_e32 vcc_lo, 0, v83
	v_dual_cndmask_b32 v96, v162, v96 :: v_dual_add_nc_u32 v83, 0xffffff89, v83
	s_delay_alu instid0(VALU_DEP_3) | instskip(NEXT) | instid1(VALU_DEP_2)
	v_cndmask_b32_e64 v161, v161, 0x77, vcc_lo
	v_cndmask_b32_e64 v83, v83, 0xffffff8a, vcc_lo
	s_delay_alu instid0(VALU_DEP_2) | instskip(SKIP_2) | instid1(VALU_DEP_4)
	v_lshrrev_b32_e32 v163, v161, v96
	v_lshl_add_u32 v162, 0x100000, v161, -1
	v_lshlrev_b32_e64 v165, v161, 0x80000
	v_add_nc_u32_e32 v161, v161, v83
	s_delay_alu instid0(VALU_DEP_4) | instskip(NEXT) | instid1(VALU_DEP_4)
	v_bfe_u32 v164, v163, 20, 1
	v_and_b32_e32 v96, v162, v96
	s_delay_alu instid0(VALU_DEP_2) | instskip(NEXT) | instid1(VALU_DEP_2)
	v_add_nc_u32_e32 v162, -1, v164
	v_cmp_eq_u32_e64 s8, v96, v165
	s_delay_alu instid0(VALU_DEP_1) | instskip(SKIP_2) | instid1(VALU_DEP_2)
	v_cndmask_b32_e64 v96, 0, v162, s8
	v_lshrrev_b32_e32 v162, 23, v163
	s_mov_b32 s8, exec_lo
	v_add_nc_u32_e32 v96, v96, v163
	s_delay_alu instid0(VALU_DEP_2) | instskip(NEXT) | instid1(VALU_DEP_2)
	v_xor_b32_e32 v162, 1, v162
	v_and_b32_e32 v83, 0xfffff, v96
	s_delay_alu instid0(VALU_DEP_1) | instskip(NEXT) | instid1(VALU_DEP_3)
	v_add_nc_u32_e32 v96, v83, v163
                                        ; implicit-def: $vgpr83
	v_cmpx_ne_u32_e64 v161, v162
	s_xor_b32 s8, exec_lo, s8
; %bb.503:                              ;   in Loop: Header=BB4_266 Depth=3
	s_delay_alu instid0(VALU_DEP_2) | instskip(SKIP_2) | instid1(VALU_DEP_2)
	v_cmp_lt_u32_e32 vcc_lo, 0xffffff, v96
	v_sub_nc_u32_e32 v83, v161, v162
	v_cndmask_b32_e64 v161, 0, 1, vcc_lo
	v_add_co_ci_u32_e32 v83, vcc_lo, 0, v83, vcc_lo
	s_delay_alu instid0(VALU_DEP_2)
	v_lshrrev_b32_e32 v96, v161, v96
; %bb.504:                              ;   in Loop: Header=BB4_266 Depth=3
	s_and_not1_saveexec_b32 s8, s8
	s_cbranch_execz .LBB4_263
; %bb.505:                              ;   in Loop: Header=BB4_266 Depth=3
	s_delay_alu instid0(VALU_DEP_1)
	v_bfe_u32 v83, v96, 23, 1
	s_branch .LBB4_263
.LBB4_506:                              ;   in Loop: Header=BB4_266 Depth=3
	s_mov_b32 s8, -1
	s_mov_b32 s21, exec_lo
                                        ; implicit-def: $sgpr9
	v_cmpx_eq_u16_e32 0x80, v83
; %bb.507:                              ;   in Loop: Header=BB4_266 Depth=3
	s_mov_b32 s9, 0x7f800001
	s_xor_b32 s8, exec_lo, -1
; %bb.508:                              ;   in Loop: Header=BB4_266 Depth=3
	s_or_b32 exec_lo, exec_lo, s21
	s_delay_alu instid0(SALU_CYCLE_1)
	s_and_b32 s8, s8, exec_lo
                                        ; implicit-def: $vgpr83
	s_or_saveexec_b32 s20, s20
	v_mov_b32_e32 v17, s9
	s_xor_b32 exec_lo, exec_lo, s20
	s_cbranch_execz .LBB4_286
.LBB4_509:                              ;   in Loop: Header=BB4_266 Depth=3
	v_cmp_ne_u16_e32 vcc_lo, 0, v83
	v_mov_b32_e32 v17, 0
	s_and_not1_b32 s8, s8, exec_lo
	s_and_b32 s9, vcc_lo, exec_lo
	s_delay_alu instid0(SALU_CYCLE_1)
	s_or_b32 s8, s8, s9
	s_or_b32 exec_lo, exec_lo, s20
	s_and_saveexec_b32 s9, s8
	s_cbranch_execnz .LBB4_287
	s_branch .LBB4_288
.LBB4_510:                              ;   in Loop: Header=BB4_266 Depth=3
	s_mov_b32 s8, -1
	s_mov_b32 s21, exec_lo
                                        ; implicit-def: $sgpr9
	v_cmpx_eq_u16_e32 0x80, v83
; %bb.511:                              ;   in Loop: Header=BB4_266 Depth=3
	s_mov_b32 s9, 0x7f800001
	s_xor_b32 s8, exec_lo, -1
; %bb.512:                              ;   in Loop: Header=BB4_266 Depth=3
	s_or_b32 exec_lo, exec_lo, s21
	s_delay_alu instid0(SALU_CYCLE_1)
	s_and_b32 s8, s8, exec_lo
	s_or_saveexec_b32 s20, s20
	v_mov_b32_e32 v96, s9
	s_xor_b32 exec_lo, exec_lo, s20
	s_cbranch_execz .LBB4_298
.LBB4_513:                              ;   in Loop: Header=BB4_266 Depth=3
	v_cmp_ne_u16_e32 vcc_lo, 0, v83
	v_mov_b32_e32 v96, 0
	s_and_not1_b32 s8, s8, exec_lo
	s_and_b32 s9, vcc_lo, exec_lo
	s_delay_alu instid0(SALU_CYCLE_1)
	s_or_b32 s8, s8, s9
	s_or_b32 exec_lo, exec_lo, s20
	s_and_saveexec_b32 s9, s8
	s_cbranch_execnz .LBB4_299
	s_branch .LBB4_300
.LBB4_514:                              ;   in Loop: Header=BB4_266 Depth=3
	s_mov_b32 s8, -1
	s_mov_b32 s21, exec_lo
                                        ; implicit-def: $sgpr9
	v_cmpx_eq_u16_e32 0x80, v97
; %bb.515:                              ;   in Loop: Header=BB4_266 Depth=3
	s_mov_b32 s9, 0x7f800001
	s_xor_b32 s8, exec_lo, -1
; %bb.516:                              ;   in Loop: Header=BB4_266 Depth=3
	s_or_b32 exec_lo, exec_lo, s21
	s_delay_alu instid0(SALU_CYCLE_1)
	s_and_b32 s8, s8, exec_lo
                                        ; implicit-def: $vgpr97
	s_or_saveexec_b32 s20, s20
	v_mov_b32_e32 v96, s9
	s_xor_b32 exec_lo, exec_lo, s20
	s_cbranch_execz .LBB4_310
.LBB4_517:                              ;   in Loop: Header=BB4_266 Depth=3
	v_cmp_ne_u16_e32 vcc_lo, 0, v97
	v_mov_b32_e32 v96, 0
	s_and_not1_b32 s8, s8, exec_lo
	s_and_b32 s9, vcc_lo, exec_lo
	s_delay_alu instid0(SALU_CYCLE_1)
	s_or_b32 s8, s8, s9
	s_or_b32 exec_lo, exec_lo, s20
	s_and_saveexec_b32 s9, s8
	s_cbranch_execnz .LBB4_311
	s_branch .LBB4_312
.LBB4_518:                              ;   in Loop: Header=BB4_266 Depth=3
	s_mov_b32 s8, -1
	s_mov_b32 s21, exec_lo
                                        ; implicit-def: $sgpr9
	v_cmpx_eq_u16_e32 0x80, v83
; %bb.519:                              ;   in Loop: Header=BB4_266 Depth=3
	s_mov_b32 s9, 0x7f800001
	s_xor_b32 s8, exec_lo, -1
; %bb.520:                              ;   in Loop: Header=BB4_266 Depth=3
	s_or_b32 exec_lo, exec_lo, s21
	s_delay_alu instid0(SALU_CYCLE_1)
	s_and_b32 s8, s8, exec_lo
	s_or_saveexec_b32 s20, s20
	v_mov_b32_e32 v96, s9
	s_xor_b32 exec_lo, exec_lo, s20
	s_cbranch_execz .LBB4_322
.LBB4_521:                              ;   in Loop: Header=BB4_266 Depth=3
	v_cmp_ne_u16_e32 vcc_lo, 0, v83
	v_mov_b32_e32 v96, 0
	s_and_not1_b32 s8, s8, exec_lo
	s_and_b32 s9, vcc_lo, exec_lo
	s_delay_alu instid0(SALU_CYCLE_1)
	s_or_b32 s8, s8, s9
	s_or_b32 exec_lo, exec_lo, s20
	s_and_saveexec_b32 s9, s8
	s_cbranch_execnz .LBB4_323
	s_branch .LBB4_324
.LBB4_522:                              ;   in Loop: Header=BB4_266 Depth=3
	s_mov_b32 s8, -1
	s_mov_b32 s21, exec_lo
                                        ; implicit-def: $sgpr9
	v_cmpx_eq_u16_e32 0x80, v22
; %bb.523:                              ;   in Loop: Header=BB4_266 Depth=3
	s_mov_b32 s9, 0x7f800001
	s_xor_b32 s8, exec_lo, -1
; %bb.524:                              ;   in Loop: Header=BB4_266 Depth=3
	s_or_b32 exec_lo, exec_lo, s21
	s_delay_alu instid0(SALU_CYCLE_1)
	s_and_b32 s8, s8, exec_lo
                                        ; implicit-def: $vgpr22
	s_or_saveexec_b32 s20, s20
	v_mov_b32_e32 v20, s9
	s_xor_b32 exec_lo, exec_lo, s20
	s_cbranch_execz .LBB4_334
.LBB4_525:                              ;   in Loop: Header=BB4_266 Depth=3
	v_cmp_ne_u16_e32 vcc_lo, 0, v22
	v_mov_b32_e32 v20, 0
	s_and_not1_b32 s8, s8, exec_lo
	s_and_b32 s9, vcc_lo, exec_lo
	s_delay_alu instid0(SALU_CYCLE_1)
	s_or_b32 s8, s8, s9
	s_or_b32 exec_lo, exec_lo, s20
	s_and_saveexec_b32 s9, s8
	s_cbranch_execnz .LBB4_335
	s_branch .LBB4_336
.LBB4_526:                              ;   in Loop: Header=BB4_266 Depth=3
	s_mov_b32 s8, -1
	s_mov_b32 s21, exec_lo
                                        ; implicit-def: $sgpr9
	v_cmpx_eq_u16_e32 0x80, v20
; %bb.527:                              ;   in Loop: Header=BB4_266 Depth=3
	s_mov_b32 s9, 0x7f800001
	s_xor_b32 s8, exec_lo, -1
; %bb.528:                              ;   in Loop: Header=BB4_266 Depth=3
	s_or_b32 exec_lo, exec_lo, s21
	s_delay_alu instid0(SALU_CYCLE_1)
	s_and_b32 s8, s8, exec_lo
	s_or_saveexec_b32 s20, s20
	v_mov_b32_e32 v160, s9
	s_xor_b32 exec_lo, exec_lo, s20
	s_cbranch_execz .LBB4_346
.LBB4_529:                              ;   in Loop: Header=BB4_266 Depth=3
	v_cmp_ne_u16_e32 vcc_lo, 0, v20
	v_mov_b32_e32 v160, 0
	s_and_not1_b32 s8, s8, exec_lo
	s_and_b32 s9, vcc_lo, exec_lo
	s_delay_alu instid0(SALU_CYCLE_1)
	s_or_b32 s8, s8, s9
	s_or_b32 exec_lo, exec_lo, s20
	s_and_saveexec_b32 s9, s8
	s_cbranch_execnz .LBB4_347
	s_branch .LBB4_348
.LBB4_530:                              ;   in Loop: Header=BB4_266 Depth=3
	s_mov_b32 s8, -1
	s_mov_b32 s21, exec_lo
                                        ; implicit-def: $sgpr9
	v_cmpx_eq_u16_e64 0x80, v162
; %bb.531:                              ;   in Loop: Header=BB4_266 Depth=3
	s_mov_b32 s9, 0x7f800001
	s_xor_b32 s8, exec_lo, -1
; %bb.532:                              ;   in Loop: Header=BB4_266 Depth=3
	s_or_b32 exec_lo, exec_lo, s21
	s_delay_alu instid0(SALU_CYCLE_1)
	s_and_b32 s8, s8, exec_lo
                                        ; implicit-def: $vgpr162
	s_or_saveexec_b32 s20, s20
	v_mov_b32_e32 v161, s9
	s_xor_b32 exec_lo, exec_lo, s20
	s_cbranch_execz .LBB4_358
.LBB4_533:                              ;   in Loop: Header=BB4_266 Depth=3
	v_cmp_ne_u16_e64 vcc_lo, 0, v162
	v_mov_b32_e32 v161, 0
	s_and_not1_b32 s8, s8, exec_lo
	s_delay_alu instid0(VALU_DEP_2) | instskip(NEXT) | instid1(SALU_CYCLE_1)
	s_and_b32 s9, vcc_lo, exec_lo
	s_or_b32 s8, s8, s9
	s_or_b32 exec_lo, exec_lo, s20
	s_and_saveexec_b32 s9, s8
	s_cbranch_execnz .LBB4_359
	s_branch .LBB4_360
.LBB4_534:                              ;   in Loop: Header=BB4_266 Depth=3
	s_mov_b32 s8, -1
	s_mov_b32 s21, exec_lo
                                        ; implicit-def: $sgpr9
	v_cmpx_eq_u16_e64 0x80, v161
; %bb.535:                              ;   in Loop: Header=BB4_266 Depth=3
	s_mov_b32 s9, 0x7f800001
	s_xor_b32 s8, exec_lo, -1
; %bb.536:                              ;   in Loop: Header=BB4_266 Depth=3
	s_or_b32 exec_lo, exec_lo, s21
	s_delay_alu instid0(SALU_CYCLE_1)
	s_and_b32 s8, s8, exec_lo
	s_or_saveexec_b32 s20, s20
	v_mov_b32_e32 v162, s9
	s_xor_b32 exec_lo, exec_lo, s20
	s_cbranch_execz .LBB4_370
.LBB4_537:                              ;   in Loop: Header=BB4_266 Depth=3
	v_cmp_ne_u16_e64 vcc_lo, 0, v161
	v_mov_b32_e32 v162, 0
	s_and_not1_b32 s8, s8, exec_lo
	s_delay_alu instid0(VALU_DEP_2) | instskip(NEXT) | instid1(SALU_CYCLE_1)
	s_and_b32 s9, vcc_lo, exec_lo
	s_or_b32 s8, s8, s9
	s_or_b32 exec_lo, exec_lo, s20
	s_and_saveexec_b32 s9, s8
	s_cbranch_execnz .LBB4_371
	s_branch .LBB4_372
.LBB4_538:                              ;   in Loop: Header=BB4_266 Depth=3
	s_mov_b32 s8, -1
	s_mov_b32 s21, exec_lo
                                        ; implicit-def: $sgpr9
	v_cmpx_eq_u16_e64 0x80, v162
; %bb.539:                              ;   in Loop: Header=BB4_266 Depth=3
	s_mov_b32 s9, 0x7f800001
	s_xor_b32 s8, exec_lo, -1
; %bb.540:                              ;   in Loop: Header=BB4_266 Depth=3
	s_or_b32 exec_lo, exec_lo, s21
	s_delay_alu instid0(SALU_CYCLE_1)
	s_and_b32 s8, s8, exec_lo
                                        ; implicit-def: $vgpr162
	s_or_saveexec_b32 s20, s20
	v_mov_b32_e32 v161, s9
	s_xor_b32 exec_lo, exec_lo, s20
	s_cbranch_execz .LBB4_382
.LBB4_541:                              ;   in Loop: Header=BB4_266 Depth=3
	v_cmp_ne_u16_e64 vcc_lo, 0, v162
	v_mov_b32_e32 v161, 0
	s_and_not1_b32 s8, s8, exec_lo
	s_delay_alu instid0(VALU_DEP_2) | instskip(NEXT) | instid1(SALU_CYCLE_1)
	s_and_b32 s9, vcc_lo, exec_lo
	s_or_b32 s8, s8, s9
	s_or_b32 exec_lo, exec_lo, s20
	s_and_saveexec_b32 s9, s8
	s_cbranch_execnz .LBB4_383
	s_branch .LBB4_384
.LBB4_542:                              ;   in Loop: Header=BB4_266 Depth=3
	s_mov_b32 s8, -1
	s_mov_b32 s21, exec_lo
                                        ; implicit-def: $sgpr9
	v_cmpx_eq_u16_e64 0x80, v163
; %bb.543:                              ;   in Loop: Header=BB4_266 Depth=3
	s_mov_b32 s9, 0x7f800001
	s_xor_b32 s8, exec_lo, -1
; %bb.544:                              ;   in Loop: Header=BB4_266 Depth=3
	s_or_b32 exec_lo, exec_lo, s21
	s_delay_alu instid0(SALU_CYCLE_1)
	s_and_b32 s8, s8, exec_lo
                                        ; implicit-def: $vgpr163
	s_or_saveexec_b32 s20, s20
	v_mov_b32_e32 v162, s9
	s_xor_b32 exec_lo, exec_lo, s20
	s_cbranch_execz .LBB4_386
.LBB4_545:                              ;   in Loop: Header=BB4_266 Depth=3
	v_cmp_ne_u16_e64 vcc_lo, 0, v163
	v_mov_b32_e32 v162, 0
	s_and_not1_b32 s8, s8, exec_lo
	s_delay_alu instid0(VALU_DEP_2) | instskip(NEXT) | instid1(SALU_CYCLE_1)
	s_and_b32 s9, vcc_lo, exec_lo
	s_or_b32 s8, s8, s9
	s_or_b32 exec_lo, exec_lo, s20
	s_and_saveexec_b32 s9, s8
	s_cbranch_execnz .LBB4_387
	s_branch .LBB4_388
.LBB4_546:                              ;   in Loop: Header=BB4_266 Depth=3
	s_mov_b32 s8, -1
	s_mov_b32 s21, exec_lo
                                        ; implicit-def: $sgpr9
	v_cmpx_eq_u16_e64 0x80, v162
; %bb.547:                              ;   in Loop: Header=BB4_266 Depth=3
	s_mov_b32 s9, 0x7f800001
	s_xor_b32 s8, exec_lo, -1
; %bb.548:                              ;   in Loop: Header=BB4_266 Depth=3
	s_or_b32 exec_lo, exec_lo, s21
	s_delay_alu instid0(SALU_CYCLE_1)
	s_and_b32 s8, s8, exec_lo
	s_or_saveexec_b32 s20, s20
	v_mov_b32_e32 v161, s9
	s_xor_b32 exec_lo, exec_lo, s20
	s_cbranch_execz .LBB4_398
.LBB4_549:                              ;   in Loop: Header=BB4_266 Depth=3
	v_cmp_ne_u16_e64 vcc_lo, 0, v162
	v_mov_b32_e32 v161, 0
	s_and_not1_b32 s8, s8, exec_lo
	s_delay_alu instid0(VALU_DEP_2) | instskip(NEXT) | instid1(SALU_CYCLE_1)
	s_and_b32 s9, vcc_lo, exec_lo
	s_or_b32 s8, s8, s9
	s_or_b32 exec_lo, exec_lo, s20
	s_and_saveexec_b32 s9, s8
	s_cbranch_execnz .LBB4_399
	s_branch .LBB4_400
.LBB4_550:                              ;   in Loop: Header=BB4_266 Depth=3
	s_mov_b32 s8, -1
	s_mov_b32 s21, exec_lo
                                        ; implicit-def: $sgpr9
	v_cmpx_eq_u16_e64 0x80, v163
; %bb.551:                              ;   in Loop: Header=BB4_266 Depth=3
	s_mov_b32 s9, 0x7f800001
	s_xor_b32 s8, exec_lo, -1
; %bb.552:                              ;   in Loop: Header=BB4_266 Depth=3
	s_or_b32 exec_lo, exec_lo, s21
	s_delay_alu instid0(SALU_CYCLE_1)
	s_and_b32 s8, s8, exec_lo
                                        ; implicit-def: $vgpr163
	s_or_saveexec_b32 s20, s20
	v_mov_b32_e32 v162, s9
	s_xor_b32 exec_lo, exec_lo, s20
	s_cbranch_execz .LBB4_402
.LBB4_553:                              ;   in Loop: Header=BB4_266 Depth=3
	v_cmp_ne_u16_e64 vcc_lo, 0, v163
	v_mov_b32_e32 v162, 0
	s_and_not1_b32 s8, s8, exec_lo
	s_delay_alu instid0(VALU_DEP_2) | instskip(NEXT) | instid1(SALU_CYCLE_1)
	s_and_b32 s9, vcc_lo, exec_lo
	s_or_b32 s8, s8, s9
	s_or_b32 exec_lo, exec_lo, s20
	s_and_saveexec_b32 s9, s8
	s_cbranch_execnz .LBB4_403
	s_branch .LBB4_404
.LBB4_554:                              ;   in Loop: Header=BB4_266 Depth=3
	s_mov_b32 s8, -1
	s_mov_b32 s21, exec_lo
                                        ; implicit-def: $sgpr9
	v_cmpx_eq_u16_e64 0x80, v163
; %bb.555:                              ;   in Loop: Header=BB4_266 Depth=3
	s_mov_b32 s9, 0x7f800001
	s_xor_b32 s8, exec_lo, -1
; %bb.556:                              ;   in Loop: Header=BB4_266 Depth=3
	s_or_b32 exec_lo, exec_lo, s21
	s_delay_alu instid0(SALU_CYCLE_1)
	s_and_b32 s8, s8, exec_lo
                                        ; implicit-def: $vgpr163
	s_or_saveexec_b32 s20, s20
	v_mov_b32_e32 v161, s9
	s_xor_b32 exec_lo, exec_lo, s20
	s_cbranch_execz .LBB4_414
.LBB4_557:                              ;   in Loop: Header=BB4_266 Depth=3
	v_cmp_ne_u16_e64 vcc_lo, 0, v163
	v_mov_b32_e32 v161, 0
	s_and_not1_b32 s8, s8, exec_lo
	s_delay_alu instid0(VALU_DEP_2) | instskip(NEXT) | instid1(SALU_CYCLE_1)
	s_and_b32 s9, vcc_lo, exec_lo
	s_or_b32 s8, s8, s9
	s_or_b32 exec_lo, exec_lo, s20
	s_and_saveexec_b32 s9, s8
	s_cbranch_execnz .LBB4_415
	s_branch .LBB4_416
.LBB4_558:                              ;   in Loop: Header=BB4_266 Depth=3
	s_mov_b32 s8, -1
	s_mov_b32 s21, exec_lo
                                        ; implicit-def: $sgpr9
	v_cmpx_eq_u16_e64 0x80, v163
; %bb.559:                              ;   in Loop: Header=BB4_266 Depth=3
	s_mov_b32 s9, 0x7f800001
	s_xor_b32 s8, exec_lo, -1
; %bb.560:                              ;   in Loop: Header=BB4_266 Depth=3
	s_or_b32 exec_lo, exec_lo, s21
	s_delay_alu instid0(SALU_CYCLE_1)
	s_and_b32 s8, s8, exec_lo
                                        ; implicit-def: $vgpr163
	s_or_saveexec_b32 s20, s20
	v_mov_b32_e32 v162, s9
	s_xor_b32 exec_lo, exec_lo, s20
	s_cbranch_execz .LBB4_418
.LBB4_561:                              ;   in Loop: Header=BB4_266 Depth=3
	v_cmp_ne_u16_e64 vcc_lo, 0, v163
	v_mov_b32_e32 v162, 0
	s_and_not1_b32 s8, s8, exec_lo
	s_delay_alu instid0(VALU_DEP_2) | instskip(NEXT) | instid1(SALU_CYCLE_1)
	s_and_b32 s9, vcc_lo, exec_lo
	s_or_b32 s8, s8, s9
	s_or_b32 exec_lo, exec_lo, s20
	s_and_saveexec_b32 s9, s8
	s_cbranch_execnz .LBB4_419
	s_branch .LBB4_420
.LBB4_562:                              ;   in Loop: Header=BB4_266 Depth=3
	s_mov_b32 s8, -1
	s_mov_b32 s21, exec_lo
                                        ; implicit-def: $sgpr9
	v_cmpx_eq_u16_e64 0x80, v162
; %bb.563:                              ;   in Loop: Header=BB4_266 Depth=3
	s_mov_b32 s9, 0x7f800001
	s_xor_b32 s8, exec_lo, -1
; %bb.564:                              ;   in Loop: Header=BB4_266 Depth=3
	s_or_b32 exec_lo, exec_lo, s21
	s_delay_alu instid0(SALU_CYCLE_1)
	s_and_b32 s8, s8, exec_lo
	s_or_saveexec_b32 s20, s20
	v_mov_b32_e32 v161, s9
	s_xor_b32 exec_lo, exec_lo, s20
	s_cbranch_execz .LBB4_430
.LBB4_565:                              ;   in Loop: Header=BB4_266 Depth=3
	v_cmp_ne_u16_e64 vcc_lo, 0, v162
	v_mov_b32_e32 v161, 0
	s_and_not1_b32 s8, s8, exec_lo
	s_delay_alu instid0(VALU_DEP_2) | instskip(NEXT) | instid1(SALU_CYCLE_1)
	s_and_b32 s9, vcc_lo, exec_lo
	s_or_b32 s8, s8, s9
	s_or_b32 exec_lo, exec_lo, s20
	s_and_saveexec_b32 s9, s8
	s_cbranch_execnz .LBB4_431
	s_branch .LBB4_432
.LBB4_566:                              ;   in Loop: Header=BB4_266 Depth=3
	s_mov_b32 s8, -1
	s_mov_b32 s21, exec_lo
                                        ; implicit-def: $sgpr9
	v_cmpx_eq_u16_e32 0x80, v19
; %bb.567:                              ;   in Loop: Header=BB4_266 Depth=3
	s_mov_b32 s9, 0x7f800001
	s_xor_b32 s8, exec_lo, -1
; %bb.568:                              ;   in Loop: Header=BB4_266 Depth=3
	s_or_b32 exec_lo, exec_lo, s21
	s_delay_alu instid0(SALU_CYCLE_1)
	s_and_b32 s8, s8, exec_lo
	s_or_saveexec_b32 s20, s20
	v_mov_b32_e32 v162, s9
	s_xor_b32 exec_lo, exec_lo, s20
	s_cbranch_execz .LBB4_434
.LBB4_569:                              ;   in Loop: Header=BB4_266 Depth=3
	v_cmp_ne_u16_e32 vcc_lo, 0, v19
	v_mov_b32_e32 v162, 0
	s_and_not1_b32 s8, s8, exec_lo
	s_and_b32 s9, vcc_lo, exec_lo
	s_delay_alu instid0(SALU_CYCLE_1)
	s_or_b32 s8, s8, s9
	s_or_b32 exec_lo, exec_lo, s20
	s_and_saveexec_b32 s9, s8
	s_cbranch_execnz .LBB4_435
	s_branch .LBB4_436
.LBB4_570:                              ;   in Loop: Header=BB4_266 Depth=3
	s_mov_b32 s8, -1
	s_mov_b32 s21, exec_lo
                                        ; implicit-def: $sgpr9
	v_cmpx_eq_u16_e32 0x80, v96
; %bb.571:                              ;   in Loop: Header=BB4_266 Depth=3
	s_mov_b32 s9, 0x7f800001
	s_xor_b32 s8, exec_lo, -1
; %bb.572:                              ;   in Loop: Header=BB4_266 Depth=3
	s_or_b32 exec_lo, exec_lo, s21
	s_delay_alu instid0(SALU_CYCLE_1)
	s_and_b32 s8, s8, exec_lo
                                        ; implicit-def: $vgpr96
	s_or_saveexec_b32 s20, s20
	v_mov_b32_e32 v162, s9
	s_xor_b32 exec_lo, exec_lo, s20
	s_cbranch_execz .LBB4_446
.LBB4_573:                              ;   in Loop: Header=BB4_266 Depth=3
	v_cmp_ne_u16_e32 vcc_lo, 0, v96
	v_mov_b32_e32 v162, 0
	s_and_not1_b32 s8, s8, exec_lo
	s_and_b32 s9, vcc_lo, exec_lo
	s_delay_alu instid0(SALU_CYCLE_1)
	s_or_b32 s8, s8, s9
	s_or_b32 exec_lo, exec_lo, s20
	s_and_saveexec_b32 s9, s8
	s_cbranch_execnz .LBB4_447
	s_branch .LBB4_448
.LBB4_574:                              ;   in Loop: Header=BB4_266 Depth=3
	s_mov_b32 s8, -1
	s_mov_b32 s21, exec_lo
                                        ; implicit-def: $sgpr9
	v_cmpx_eq_u16_e64 0x80, v160
; %bb.575:                              ;   in Loop: Header=BB4_266 Depth=3
	s_mov_b32 s9, 0x7f800001
	s_xor_b32 s8, exec_lo, -1
; %bb.576:                              ;   in Loop: Header=BB4_266 Depth=3
	s_or_b32 exec_lo, exec_lo, s21
	s_delay_alu instid0(SALU_CYCLE_1)
	s_and_b32 s8, s8, exec_lo
                                        ; implicit-def: $vgpr160
	s_or_saveexec_b32 s20, s20
	v_mov_b32_e32 v22, s9
	s_xor_b32 exec_lo, exec_lo, s20
	s_cbranch_execz .LBB4_450
.LBB4_577:                              ;   in Loop: Header=BB4_266 Depth=3
	v_cmp_ne_u16_e64 vcc_lo, 0, v160
	v_mov_b32_e32 v22, 0
	s_and_not1_b32 s8, s8, exec_lo
	s_delay_alu instid0(VALU_DEP_2) | instskip(NEXT) | instid1(SALU_CYCLE_1)
	s_and_b32 s9, vcc_lo, exec_lo
	s_or_b32 s8, s8, s9
	s_or_b32 exec_lo, exec_lo, s20
	s_and_saveexec_b32 s9, s8
	s_cbranch_execnz .LBB4_451
	s_branch .LBB4_452
.LBB4_578:                              ;   in Loop: Header=BB4_266 Depth=3
	s_mov_b32 s8, -1
	s_mov_b32 s21, exec_lo
                                        ; implicit-def: $sgpr9
	v_cmpx_eq_u16_e64 0x80, v161
; %bb.579:                              ;   in Loop: Header=BB4_266 Depth=3
	s_mov_b32 s9, 0x7f800001
	s_xor_b32 s8, exec_lo, -1
; %bb.580:                              ;   in Loop: Header=BB4_266 Depth=3
	s_or_b32 exec_lo, exec_lo, s21
	s_delay_alu instid0(SALU_CYCLE_1)
	s_and_b32 s8, s8, exec_lo
	s_or_saveexec_b32 s20, s20
	v_mov_b32_e32 v160, s9
	s_xor_b32 exec_lo, exec_lo, s20
	s_cbranch_execz .LBB4_462
.LBB4_581:                              ;   in Loop: Header=BB4_266 Depth=3
	v_cmp_ne_u16_e64 vcc_lo, 0, v161
	v_mov_b32_e32 v160, 0
	s_and_not1_b32 s8, s8, exec_lo
	s_delay_alu instid0(VALU_DEP_2) | instskip(NEXT) | instid1(SALU_CYCLE_1)
	s_and_b32 s9, vcc_lo, exec_lo
	s_or_b32 s8, s8, s9
	s_or_b32 exec_lo, exec_lo, s20
	s_and_saveexec_b32 s9, s8
	s_cbranch_execnz .LBB4_463
	s_branch .LBB4_464
.LBB4_582:                              ;   in Loop: Header=BB4_266 Depth=3
	s_mov_b32 s8, -1
	s_mov_b32 s21, exec_lo
                                        ; implicit-def: $sgpr9
	v_cmpx_eq_u16_e64 0x80, v161
; %bb.583:                              ;   in Loop: Header=BB4_266 Depth=3
	s_mov_b32 s9, 0x7f800001
	s_xor_b32 s8, exec_lo, -1
; %bb.584:                              ;   in Loop: Header=BB4_266 Depth=3
	s_or_b32 exec_lo, exec_lo, s21
	s_delay_alu instid0(SALU_CYCLE_1)
	s_and_b32 s8, s8, exec_lo
	s_or_saveexec_b32 s20, s20
	v_mov_b32_e32 v162, s9
	s_xor_b32 exec_lo, exec_lo, s20
	s_cbranch_execz .LBB4_466
.LBB4_585:                              ;   in Loop: Header=BB4_266 Depth=3
	v_cmp_ne_u16_e64 vcc_lo, 0, v161
	v_mov_b32_e32 v162, 0
	s_and_not1_b32 s8, s8, exec_lo
	s_delay_alu instid0(VALU_DEP_2) | instskip(NEXT) | instid1(SALU_CYCLE_1)
	s_and_b32 s9, vcc_lo, exec_lo
	s_or_b32 s8, s8, s9
	s_or_b32 exec_lo, exec_lo, s20
	s_and_saveexec_b32 s9, s8
	s_cbranch_execnz .LBB4_467
	s_branch .LBB4_468
.LBB4_586:                              ;   in Loop: Header=BB4_266 Depth=3
	s_mov_b32 s8, -1
	s_mov_b32 s21, exec_lo
                                        ; implicit-def: $sgpr9
	v_cmpx_eq_u16_e64 0x80, v163
; %bb.587:                              ;   in Loop: Header=BB4_266 Depth=3
	s_mov_b32 s9, 0x7f800001
	s_xor_b32 s8, exec_lo, -1
; %bb.588:                              ;   in Loop: Header=BB4_266 Depth=3
	s_or_b32 exec_lo, exec_lo, s21
	s_delay_alu instid0(SALU_CYCLE_1)
	s_and_b32 s8, s8, exec_lo
                                        ; implicit-def: $vgpr163
	s_or_saveexec_b32 s20, s20
	v_mov_b32_e32 v161, s9
	s_xor_b32 exec_lo, exec_lo, s20
	s_cbranch_execz .LBB4_478
.LBB4_589:                              ;   in Loop: Header=BB4_266 Depth=3
	v_cmp_ne_u16_e64 vcc_lo, 0, v163
	v_mov_b32_e32 v161, 0
	s_and_not1_b32 s8, s8, exec_lo
	s_delay_alu instid0(VALU_DEP_2) | instskip(NEXT) | instid1(SALU_CYCLE_1)
	s_and_b32 s9, vcc_lo, exec_lo
	s_or_b32 s8, s8, s9
	s_or_b32 exec_lo, exec_lo, s20
	s_and_saveexec_b32 s9, s8
	s_cbranch_execnz .LBB4_479
	s_branch .LBB4_480
.LBB4_590:                              ;   in Loop: Header=BB4_266 Depth=3
	s_mov_b32 s8, -1
	s_mov_b32 s21, exec_lo
                                        ; implicit-def: $sgpr9
	v_cmpx_eq_u16_e32 0x80, v83
; %bb.591:                              ;   in Loop: Header=BB4_266 Depth=3
	s_mov_b32 s9, 0x7f800001
	s_xor_b32 s8, exec_lo, -1
; %bb.592:                              ;   in Loop: Header=BB4_266 Depth=3
	s_or_b32 exec_lo, exec_lo, s21
	s_delay_alu instid0(SALU_CYCLE_1)
	s_and_b32 s8, s8, exec_lo
                                        ; implicit-def: $vgpr83
	s_or_saveexec_b32 s20, s20
	v_mov_b32_e32 v162, s9
	s_xor_b32 exec_lo, exec_lo, s20
	s_cbranch_execz .LBB4_482
.LBB4_593:                              ;   in Loop: Header=BB4_266 Depth=3
	v_cmp_ne_u16_e32 vcc_lo, 0, v83
	v_mov_b32_e32 v162, 0
	s_and_not1_b32 s8, s8, exec_lo
	s_and_b32 s9, vcc_lo, exec_lo
	s_delay_alu instid0(SALU_CYCLE_1)
	s_or_b32 s8, s8, s9
	s_or_b32 exec_lo, exec_lo, s20
	v_lshl_or_b32 v83, v20, 16, v96
	s_and_saveexec_b32 s9, s8
	s_cbranch_execnz .LBB4_483
	s_branch .LBB4_484
.LBB4_594:                              ;   in Loop: Header=BB4_266 Depth=3
	s_mov_b32 s8, -1
	s_mov_b32 s21, exec_lo
                                        ; implicit-def: $sgpr9
	v_cmpx_eq_u16_e64 0x80, v161
; %bb.595:                              ;   in Loop: Header=BB4_266 Depth=3
	s_mov_b32 s9, 0x7f800001
	s_xor_b32 s8, exec_lo, -1
; %bb.596:                              ;   in Loop: Header=BB4_266 Depth=3
	s_or_b32 exec_lo, exec_lo, s21
	s_delay_alu instid0(SALU_CYCLE_1)
	s_and_b32 s8, s8, exec_lo
	s_or_saveexec_b32 s20, s20
	v_mov_b32_e32 v96, s9
	s_xor_b32 exec_lo, exec_lo, s20
	s_cbranch_execz .LBB4_494
.LBB4_597:                              ;   in Loop: Header=BB4_266 Depth=3
	v_cmp_ne_u16_e64 vcc_lo, 0, v161
	v_mov_b32_e32 v96, 0
	s_and_not1_b32 s8, s8, exec_lo
	s_delay_alu instid0(VALU_DEP_2) | instskip(NEXT) | instid1(SALU_CYCLE_1)
	s_and_b32 s9, vcc_lo, exec_lo
	s_or_b32 s8, s8, s9
	s_or_b32 exec_lo, exec_lo, s20
	s_and_saveexec_b32 s9, s8
	s_cbranch_execnz .LBB4_495
	s_branch .LBB4_496
.LBB4_598:                              ;   in Loop: Header=BB4_266 Depth=3
	s_mov_b32 s8, -1
	s_mov_b32 s21, exec_lo
                                        ; implicit-def: $sgpr9
	v_cmpx_eq_u16_e32 0x80, v21
; %bb.599:                              ;   in Loop: Header=BB4_266 Depth=3
	s_mov_b32 s9, 0x7f800001
	s_xor_b32 s8, exec_lo, -1
; %bb.600:                              ;   in Loop: Header=BB4_266 Depth=3
	s_or_b32 exec_lo, exec_lo, s21
	s_delay_alu instid0(SALU_CYCLE_1)
	s_and_b32 s8, s8, exec_lo
	s_or_saveexec_b32 s20, s20
	v_mov_b32_e32 v161, s9
	s_xor_b32 exec_lo, exec_lo, s20
	s_cbranch_execz .LBB4_498
.LBB4_601:                              ;   in Loop: Header=BB4_266 Depth=3
	v_cmp_ne_u16_e32 vcc_lo, 0, v21
	v_mov_b32_e32 v161, 0
	s_and_not1_b32 s8, s8, exec_lo
	s_and_b32 s9, vcc_lo, exec_lo
	s_delay_alu instid0(SALU_CYCLE_1)
	s_or_b32 s8, s8, s9
	s_or_b32 exec_lo, exec_lo, s20
	s_and_saveexec_b32 s9, s8
	s_cbranch_execnz .LBB4_499
	s_branch .LBB4_500
.LBB4_602:                              ;   in Loop: Header=BB4_221 Depth=2
	s_or_b32 exec_lo, exec_lo, s19
.LBB4_603:                              ;   in Loop: Header=BB4_221 Depth=2
	s_delay_alu instid0(SALU_CYCLE_1)
	s_or_b32 exec_lo, exec_lo, s18
	s_and_saveexec_b32 s8, s3
	s_cbranch_execz .LBB4_625
; %bb.604:                              ;   in Loop: Header=BB4_221 Depth=2
	s_and_saveexec_b32 s9, s4
	s_delay_alu instid0(SALU_CYCLE_1)
	s_xor_b32 s9, exec_lo, s9
	s_cbranch_execz .LBB4_622
; %bb.605:                              ;   in Loop: Header=BB4_221 Depth=2
	s_and_saveexec_b32 s18, s5
	s_cbranch_execz .LBB4_621
; %bb.606:                              ;   in Loop: Header=BB4_221 Depth=2
	s_mov_b32 s20, exec_lo
	s_mov_b32 s19, exec_lo
	v_mbcnt_lo_u32_b32 v17, s20, 0
	s_waitcnt vmcnt(0) lgkmcnt(0)
	s_waitcnt_vscnt null, 0x0
	buffer_gl1_inv
	buffer_gl0_inv
	v_cmpx_eq_u32_e32 0, v17
	s_cbranch_execz .LBB4_608
; %bb.607:                              ;   in Loop: Header=BB4_221 Depth=2
	s_bcnt1_i32_b32 s20, s20
	s_delay_alu instid0(SALU_CYCLE_1)
	v_mov_b32_e32 v54, s20
	ds_add_u64 v0, v[54:55]
	s_cbranch_execnz .LBB4_1074
.LBB4_608:                              ;   in Loop: Header=BB4_221 Depth=2
	s_or_b32 exec_lo, exec_lo, s19
	s_cbranch_execnz .LBB4_1066
; %bb.609:                              ;   in Loop: Header=BB4_221 Depth=2
	ds_load_b64 v[17:18], v0
	v_add_co_u32 v2, vcc_lo, v2, v101
	v_add_co_ci_u32_e32 v3, vcc_lo, v3, v112, vcc_lo
	s_mov_b32 s19, exec_lo
	s_waitcnt lgkmcnt(0)
	s_delay_alu instid0(VALU_DEP_1)
	v_cmpx_lt_u64_e64 v[17:18], v[2:3]
	s_cbranch_execz .LBB4_620
; %bb.610:                              ;   in Loop: Header=BB4_221 Depth=2
	s_mov_b32 s20, 0
	s_mov_b32 s23, 0
                                        ; implicit-def: $sgpr21
                                        ; implicit-def: $sgpr22
	s_branch .LBB4_612
.LBB4_611:                              ;   in Loop: Header=BB4_612 Depth=3
	s_or_b32 exec_lo, exec_lo, s26
	s_delay_alu instid0(SALU_CYCLE_1) | instskip(NEXT) | instid1(SALU_CYCLE_1)
	s_and_b32 s24, exec_lo, s25
	s_or_b32 s20, s24, s20
	s_and_not1_b32 s21, s21, exec_lo
	s_and_b32 s24, s22, exec_lo
	s_delay_alu instid0(SALU_CYCLE_1)
	s_or_b32 s21, s21, s24
	s_and_not1_b32 exec_lo, exec_lo, s20
	s_cbranch_execz .LBB4_618
.LBB4_612:                              ;   Parent Loop BB4_40 Depth=1
                                        ;     Parent Loop BB4_221 Depth=2
                                        ; =>    This Inner Loop Header: Depth=3
	s_add_i32 s23, s23, 1
                                        ; implicit-def: $sgpr25
	s_delay_alu instid0(SALU_CYCLE_1) | instskip(SKIP_1) | instid1(SALU_CYCLE_1)
	s_cmpk_lg_i32 s23, 0x2710
	s_cselect_b32 s24, -1, 0
	s_and_b32 vcc_lo, exec_lo, s24
	s_cbranch_vccz .LBB4_616
.LBB4_613:                              ;   in Loop: Header=BB4_612 Depth=3
	s_and_not1_b32 s22, s22, exec_lo
	s_and_b32 s26, s25, exec_lo
	s_mov_b32 s25, -1
	s_or_b32 s22, s22, s26
	s_and_saveexec_b32 s26, s24
	s_cbranch_execz .LBB4_611
; %bb.614:                              ;   in Loop: Header=BB4_612 Depth=3
	s_sleep 1
	s_cbranch_execnz .LBB4_1086
; %bb.615:                              ;   in Loop: Header=BB4_612 Depth=3
	ds_load_b64 v[17:18], v0
	s_and_not1_b32 s22, s22, exec_lo
	s_waitcnt lgkmcnt(0)
	v_cmp_ge_u64_e32 vcc_lo, v[17:18], v[2:3]
	s_or_not1_b32 s25, vcc_lo, exec_lo
	s_branch .LBB4_611
.LBB4_616:                              ;   in Loop: Header=BB4_612 Depth=3
	s_cbranch_execnz .LBB4_1088
; %bb.617:                              ;   in Loop: Header=BB4_612 Depth=3
	ds_load_b64 v[17:18], v0
	s_and_not1_b32 s24, s24, exec_lo
	s_mov_b32 s23, 0
	s_mov_b32 s25, -1
	s_waitcnt lgkmcnt(0)
	flat_load_b32 v17, v[17:18] glc
	s_waitcnt vmcnt(0) lgkmcnt(0)
	buffer_gl1_inv
	buffer_gl0_inv
	v_cmp_eq_u32_e32 vcc_lo, 0, v17
	s_and_b32 s26, vcc_lo, exec_lo
	s_delay_alu instid0(SALU_CYCLE_1)
	s_or_b32 s24, s24, s26
	s_branch .LBB4_613
.LBB4_618:                              ;   in Loop: Header=BB4_221 Depth=2
	s_or_b32 exec_lo, exec_lo, s20
	s_and_saveexec_b32 s20, s21
	s_delay_alu instid0(SALU_CYCLE_1)
	s_xor_b32 s20, exec_lo, s20
	s_cbranch_execz .LBB4_620
; %bb.619:                              ;   in Loop: Header=BB4_221 Depth=2
	ds_store_b32 v0, v130
	s_cbranch_execnz .LBB4_1107
.LBB4_620:                              ;   in Loop: Header=BB4_221 Depth=2
	s_or_b32 exec_lo, exec_lo, s19
	;;#ASMSTART
	s_wakeup
	;;#ASMEND
.LBB4_621:                              ;   in Loop: Header=BB4_221 Depth=2
	s_or_b32 exec_lo, exec_lo, s18
.LBB4_622:                              ;   in Loop: Header=BB4_221 Depth=2
	s_and_not1_saveexec_b32 s9, s9
	s_cbranch_execz .LBB4_624
; %bb.623:                              ;   in Loop: Header=BB4_221 Depth=2
	s_waitcnt vmcnt(0) lgkmcnt(0)
	s_waitcnt_vscnt null, 0x0
	buffer_gl1_inv
	buffer_gl0_inv
	s_barrier
.LBB4_624:                              ;   in Loop: Header=BB4_221 Depth=2
	s_or_b32 exec_lo, exec_lo, s9
.LBB4_625:                              ;   in Loop: Header=BB4_221 Depth=2
	s_delay_alu instid0(SALU_CYCLE_1)
	s_or_b32 exec_lo, exec_lo, s8
	s_and_saveexec_b32 s8, s6
	s_cbranch_execz .LBB4_627
; %bb.626:                              ;   in Loop: Header=BB4_221 Depth=2
	v_add_co_u32 v48, vcc_lo, v48, 1
	v_add_co_ci_u32_e32 v49, vcc_lo, 0, v49, vcc_lo
	s_waitcnt vmcnt(0) lgkmcnt(0)
	s_waitcnt_vscnt null, 0x0
	flat_store_b64 v[36:37], v[48:49]
.LBB4_627:                              ;   in Loop: Header=BB4_221 Depth=2
	s_or_b32 exec_lo, exec_lo, s8
	v_and_b32_e32 v54, 0x7ffffff8, v70
	v_cmp_gt_i32_e64 s8, s14, v82
	s_delay_alu instid0(VALU_DEP_2) | instskip(NEXT) | instid1(VALU_DEP_2)
	v_cmp_eq_u64_e32 vcc_lo, 0x7ffffff8, v[54:55]
	s_and_b32 s8, vcc_lo, s8
	s_delay_alu instid0(SALU_CYCLE_1)
	s_and_saveexec_b32 s9, s8
	s_cbranch_execz .LBB4_630
; %bb.628:                              ;   in Loop: Header=BB4_221 Depth=2
	v_and_b32_e32 v17, 7, v144
	v_ashrrev_i32_e32 v83, 31, v82
	v_mov_b32_e32 v21, v70
	s_mov_b32 s18, 0
	s_delay_alu instid0(VALU_DEP_3) | instskip(SKIP_2) | instid1(VALU_DEP_2)
	v_mul_lo_u32 v17, s14, v17
	s_waitcnt vmcnt(0) lgkmcnt(0)
	v_lshlrev_b64 v[19:20], 4, v[82:83]
	v_ashrrev_i32_e32 v18, 31, v17
	s_delay_alu instid0(VALU_DEP_1) | instskip(NEXT) | instid1(VALU_DEP_1)
	v_lshlrev_b64 v[17:18], 4, v[17:18]
	v_add_co_u32 v19, vcc_lo, v19, v17
	s_delay_alu instid0(VALU_DEP_2) | instskip(SKIP_2) | instid1(VALU_DEP_4)
	v_add_co_ci_u32_e32 v20, vcc_lo, v20, v18, vcc_lo
	v_add_co_u32 v17, vcc_lo, 0, 0
	v_add_co_ci_u32_e32 v18, vcc_lo, 1, v21, vcc_lo
	v_add_co_u32 v21, vcc_lo, v38, v19
	s_delay_alu instid0(VALU_DEP_4)
	v_add_co_ci_u32_e32 v22, vcc_lo, v39, v20, vcc_lo
.LBB4_629:                              ;   Parent Loop BB4_40 Depth=1
                                        ;     Parent Loop BB4_221 Depth=2
                                        ; =>    This Inner Loop Header: Depth=3
	s_delay_alu instid0(VALU_DEP_4) | instskip(NEXT) | instid1(VALU_DEP_4)
	v_dual_mov_b32 v19, v17 :: v_dual_add_nc_u32 v82, v82, v1
	v_mov_b32_e32 v20, v18
	s_delay_alu instid0(VALU_DEP_2) | instskip(SKIP_2) | instid1(VALU_DEP_1)
	v_cmp_le_i32_e32 vcc_lo, s14, v82
	global_store_b128 v[21:22], v[17:20], off
	v_add_co_u32 v21, s8, v21, v68
	v_add_co_ci_u32_e64 v22, s8, v22, v69, s8
	s_or_b32 s18, vcc_lo, s18
	s_delay_alu instid0(SALU_CYCLE_1)
	s_and_not1_b32 exec_lo, exec_lo, s18
	s_cbranch_execnz .LBB4_629
.LBB4_630:                              ;   in Loop: Header=BB4_221 Depth=2
	s_or_b32 exec_lo, exec_lo, s9
	v_add_co_u32 v32, vcc_lo, v32, 1
	v_add_co_ci_u32_e32 v33, vcc_lo, 0, v33, vcc_lo
	v_add_co_u32 v70, vcc_lo, v70, 1
	v_add_co_ci_u32_e32 v71, vcc_lo, 0, v71, vcc_lo
	v_add_nc_u16 v144, v144, 1
	s_add_i32 s17, s17, 1
	s_delay_alu instid0(SALU_CYCLE_1)
	s_cmp_eq_u32 s17, s10
	s_cbranch_scc0 .LBB4_221
.LBB4_631:                              ;   in Loop: Header=BB4_40 Depth=1
	s_delay_alu instid0(VALU_DEP_1)
	v_dual_mov_b32 v21, v70 :: v_dual_mov_b32 v22, v71
	s_and_saveexec_b32 s9, s7
	s_cbranch_execz .LBB4_991
; %bb.632:                              ;   in Loop: Header=BB4_40 Depth=1
	flat_load_b32 v54, v[23:24]
	v_and_b32_e32 v17, 7, v32
	s_waitcnt vmcnt(1) lgkmcnt(1)
	v_add_co_u32 v19, vcc_lo, v11, v134
	v_add_co_ci_u32_e32 v20, vcc_lo, v12, v135, vcc_lo
	s_delay_alu instid0(VALU_DEP_3) | instskip(SKIP_1) | instid1(VALU_DEP_1)
	v_mul_lo_u32 v17, v17, s14
	s_mov_b32 s17, 0
	v_ashrrev_i32_e32 v18, 31, v17
	s_delay_alu instid0(VALU_DEP_1)
	v_lshlrev_b64 v[17:18], 4, v[17:18]
	s_waitcnt vmcnt(0) lgkmcnt(0)
	v_ashrrev_i32_e32 v70, 31, v54
	v_mul_lo_u32 v82, v100, v54
	v_mad_u64_u32 v[80:81], null, v99, v54, v[19:20]
	v_add_nc_u32_e32 v54, 1, v32
	s_delay_alu instid0(VALU_DEP_4)
	v_mul_lo_u32 v19, v99, v70
	v_add_co_u32 v70, vcc_lo, v117, v134
	v_add_co_ci_u32_e32 v71, vcc_lo, v118, v135, vcc_lo
	v_add_co_u32 v83, vcc_lo, v29, v17
	v_add_co_ci_u32_e32 v84, vcc_lo, v30, v18, vcc_lo
	v_add3_u32 v19, v82, v81, v19
	v_add_co_u32 v85, vcc_lo, v80, v102
	v_mov_b32_e32 v80, v4
	s_delay_alu instid0(VALU_DEP_3)
	v_add_co_ci_u32_e32 v86, vcc_lo, v19, v113, vcc_lo
	s_branch .LBB4_634
.LBB4_633:                              ;   in Loop: Header=BB4_634 Depth=2
	v_sub_nc_u32_e32 v132, v132, v103
	v_add_co_u32 v85, vcc_lo, v85, v103
	v_add_co_ci_u32_e32 v86, vcc_lo, v86, v114, vcc_lo
	s_delay_alu instid0(VALU_DEP_3) | instskip(SKIP_1) | instid1(VALU_DEP_1)
	v_cmp_gt_i32_e32 vcc_lo, 1, v132
	v_add_co_u32 v70, s7, v70, v103
	v_add_co_ci_u32_e64 v71, s7, v71, v114, s7
	v_add_nc_u32_e32 v80, v80, v1
	s_or_b32 s17, vcc_lo, s17
	s_delay_alu instid0(SALU_CYCLE_1)
	s_and_not1_b32 exec_lo, exec_lo, s17
	s_cbranch_execz .LBB4_990
.LBB4_634:                              ;   Parent Loop BB4_40 Depth=1
                                        ; =>  This Loop Header: Depth=2
                                        ;       Child Loop BB4_642 Depth 3
	s_delay_alu instid0(VALU_DEP_1)
	v_dual_mov_b32 v18, v86 :: v_dual_and_b32 v17, -4, v85
	v_min_u32_e32 v19, 8, v132
	v_dual_mov_b32 v87, 0 :: v_dual_and_b32 v20, 3, v85
	v_mov_b32_e32 v133, 0
	flat_load_b32 v96, v[17:18] glc
	v_add_co_u32 v19, s7, v20, v19
	s_delay_alu instid0(VALU_DEP_1) | instskip(SKIP_1) | instid1(VALU_DEP_1)
	v_add_co_ci_u32_e64 v20, null, 0, 0, s7
	s_mov_b32 s7, exec_lo
	v_cmpx_lt_u64_e32 4, v[19:20]
	s_cbranch_execz .LBB4_636
; %bb.635:                              ;   in Loop: Header=BB4_634 Depth=2
	flat_load_b32 v133, v[17:18] offset:4 glc
.LBB4_636:                              ;   in Loop: Header=BB4_634 Depth=2
	s_or_b32 exec_lo, exec_lo, s7
	s_delay_alu instid0(SALU_CYCLE_1)
	s_mov_b32 s7, exec_lo
	v_cmpx_lt_u64_e32 8, v[19:20]
	s_cbranch_execz .LBB4_638
; %bb.637:                              ;   in Loop: Header=BB4_634 Depth=2
	flat_load_b32 v87, v[17:18] offset:8 glc
.LBB4_638:                              ;   in Loop: Header=BB4_634 Depth=2
	s_or_b32 exec_lo, exec_lo, s7
	v_ashrrev_i32_e32 v81, 31, v80
	s_delay_alu instid0(VALU_DEP_1) | instskip(NEXT) | instid1(VALU_DEP_1)
	v_lshlrev_b64 v[17:18], 4, v[80:81]
	v_add_co_u32 v81, vcc_lo, v83, v17
	s_delay_alu instid0(VALU_DEP_2)
	v_add_co_ci_u32_e32 v82, vcc_lo, v84, v18, vcc_lo
	v_cmp_eq_u32_e32 vcc_lo, 0, v131
	;;#ASMSTART
	global_load_b128 v[17:20], v[81:82], off glc slc dlc
s_waitcnt vmcnt(0)

	;;#ASMEND
	s_and_saveexec_b32 s18, vcc_lo
	s_cbranch_execz .LBB4_652
; %bb.639:                              ;   in Loop: Header=BB4_634 Depth=2
	v_cmp_ne_u32_e64 s7, v54, v18
	v_cmp_ne_u32_e64 s8, v54, v20
	v_mov_b32_e32 v131, 0
	s_delay_alu instid0(VALU_DEP_2) | instskip(NEXT) | instid1(SALU_CYCLE_1)
	s_or_b32 s7, s7, s8
	s_and_saveexec_b32 s8, s7
	s_cbranch_execz .LBB4_651
; %bb.640:                              ;   in Loop: Header=BB4_634 Depth=2
	v_cndmask_b32_e64 v97, 0, 1, vcc_lo
	s_mov_b32 s19, 0
                                        ; implicit-def: $sgpr20
                                        ; implicit-def: $sgpr21
	s_branch .LBB4_642
.LBB4_641:                              ;   in Loop: Header=BB4_642 Depth=3
	s_or_b32 exec_lo, exec_lo, s22
	s_delay_alu instid0(SALU_CYCLE_1) | instskip(NEXT) | instid1(SALU_CYCLE_1)
	s_and_b32 s7, exec_lo, s7
	s_or_b32 s19, s7, s19
	s_and_not1_b32 s7, s20, exec_lo
	s_and_b32 s20, s21, exec_lo
	s_delay_alu instid0(SALU_CYCLE_1)
	s_or_b32 s20, s7, s20
	s_and_not1_b32 exec_lo, exec_lo, s19
	s_cbranch_execz .LBB4_650
.LBB4_642:                              ;   Parent Loop BB4_40 Depth=1
                                        ;     Parent Loop BB4_634 Depth=2
                                        ; =>    This Inner Loop Header: Depth=3
	s_delay_alu instid0(VALU_DEP_1)
	v_add_nc_u32_e32 v97, 1, v97
	v_mov_b32_e32 v131, 0
	s_mov_b32 s7, -1
	s_mov_b32 s23, -1
	s_mov_b32 s22, exec_lo
	;;#ASMSTART
	global_load_b128 v[17:20], v[81:82], off glc slc dlc
s_waitcnt vmcnt(0)

	;;#ASMEND
	v_cmpx_eq_u32_e32 0x2710, v97
	s_cbranch_execz .LBB4_648
; %bb.643:                              ;   in Loop: Header=BB4_642 Depth=3
	s_cbranch_execnz .LBB4_1033
; %bb.644:                              ;   in Loop: Header=BB4_642 Depth=3
	ds_load_b64 v[134:135], v0
	v_mov_b32_e32 v97, 0
	v_mov_b32_e32 v131, 0
	s_mov_b32 s24, -1
	s_mov_b32 s23, exec_lo
	s_waitcnt vmcnt(0) lgkmcnt(0)
	s_waitcnt_vscnt null, 0x0
	flat_load_b32 v134, v[134:135] glc
	s_waitcnt vmcnt(0) lgkmcnt(0)
	buffer_gl1_inv
	buffer_gl0_inv
	v_cmpx_ne_u32_e32 0, v134
	s_cbranch_execz .LBB4_647
; %bb.645:                              ;   in Loop: Header=BB4_642 Depth=3
	ds_store_b32 v0, v134
	s_cbranch_execnz .LBB4_1045
; %bb.646:                              ;   in Loop: Header=BB4_642 Depth=3
	v_mov_b32_e32 v131, 1
	s_xor_b32 s24, exec_lo, -1
.LBB4_647:                              ;   in Loop: Header=BB4_642 Depth=3
	s_or_b32 exec_lo, exec_lo, s23
	s_delay_alu instid0(SALU_CYCLE_1)
	s_or_not1_b32 s23, s24, exec_lo
.LBB4_648:                              ;   in Loop: Header=BB4_642 Depth=3
	s_or_b32 exec_lo, exec_lo, s22
	s_delay_alu instid0(SALU_CYCLE_1)
	s_or_b32 s21, s21, exec_lo
	s_and_saveexec_b32 s22, s23
	s_cbranch_execz .LBB4_641
; %bb.649:                              ;   in Loop: Header=BB4_642 Depth=3
	v_cmp_eq_u32_e32 vcc_lo, v54, v18
	v_cmp_eq_u32_e64 s7, v54, v20
	s_and_not1_b32 s21, s21, exec_lo
	s_delay_alu instid0(VALU_DEP_1) | instskip(NEXT) | instid1(SALU_CYCLE_1)
	s_and_b32 s7, vcc_lo, s7
	s_or_not1_b32 s7, s7, exec_lo
	s_branch .LBB4_641
.LBB4_650:                              ;   in Loop: Header=BB4_634 Depth=2
	s_or_b32 exec_lo, exec_lo, s19
	s_xor_b32 s7, s20, -1
	s_delay_alu instid0(SALU_CYCLE_1) | instskip(NEXT) | instid1(SALU_CYCLE_1)
	s_and_saveexec_b32 s19, s7
	s_xor_b32 s7, exec_lo, s19
	s_delay_alu instid0(SALU_CYCLE_1) | instskip(NEXT) | instid1(SALU_CYCLE_1)
	s_and_not1_saveexec_b32 s7, s7
	s_or_b32 exec_lo, exec_lo, s7
.LBB4_651:                              ;   in Loop: Header=BB4_634 Depth=2
	s_delay_alu instid0(SALU_CYCLE_1)
	s_or_b32 exec_lo, exec_lo, s8
.LBB4_652:                              ;   in Loop: Header=BB4_634 Depth=2
	s_delay_alu instid0(SALU_CYCLE_1) | instskip(SKIP_4) | instid1(VALU_DEP_1)
	s_or_b32 exec_lo, exec_lo, s18
	v_lshlrev_b32_e32 v18, 3, v85
	s_mov_b32 s7, 0
	s_mov_b32 s18, exec_lo
                                        ; implicit-def: $sgpr8
	s_waitcnt vmcnt(0) lgkmcnt(0)
	v_alignbit_b32 v81, v133, v96, v18
	s_delay_alu instid0(VALU_DEP_1) | instskip(NEXT) | instid1(VALU_DEP_1)
	v_and_b32_e32 v82, 0xff, v81
	v_cmpx_lt_i16_e32 0x7f, v82
	s_xor_b32 s18, exec_lo, s18
	s_cbranch_execnz .LBB4_894
; %bb.653:                              ;   in Loop: Header=BB4_634 Depth=2
	s_or_saveexec_b32 s18, s18
	v_mov_b32_e32 v20, s8
	s_xor_b32 exec_lo, exec_lo, s18
	s_cbranch_execnz .LBB4_897
.LBB4_654:                              ;   in Loop: Header=BB4_634 Depth=2
	s_or_b32 exec_lo, exec_lo, s18
	s_and_saveexec_b32 s8, s7
	s_cbranch_execz .LBB4_656
.LBB4_655:                              ;   in Loop: Header=BB4_634 Depth=2
	v_and_b32_e32 v20, 7, v81
	v_bfe_u32 v97, v81, 3, 4
	v_lshlrev_b32_e32 v134, 24, v81
	s_delay_alu instid0(VALU_DEP_3) | instskip(NEXT) | instid1(VALU_DEP_3)
	v_clz_i32_u32_e32 v82, v20
	v_cmp_eq_u32_e32 vcc_lo, 0, v97
	s_delay_alu instid0(VALU_DEP_2) | instskip(NEXT) | instid1(VALU_DEP_1)
	v_min_u32_e32 v82, 32, v82
	v_subrev_nc_u32_e32 v96, 28, v82
	v_sub_nc_u32_e32 v82, 29, v82
	s_delay_alu instid0(VALU_DEP_2) | instskip(NEXT) | instid1(VALU_DEP_2)
	v_lshlrev_b32_e32 v96, v96, v81
	v_cndmask_b32_e32 v82, v97, v82, vcc_lo
	s_delay_alu instid0(VALU_DEP_2) | instskip(NEXT) | instid1(VALU_DEP_2)
	v_and_b32_e32 v96, 7, v96
	v_lshl_add_u32 v82, v82, 23, 0x3b800000
	s_delay_alu instid0(VALU_DEP_2) | instskip(SKIP_1) | instid1(VALU_DEP_2)
	v_cndmask_b32_e32 v20, v20, v96, vcc_lo
	v_and_b32_e32 v96, 0x80000000, v134
	v_lshlrev_b32_e32 v20, 20, v20
	s_delay_alu instid0(VALU_DEP_1)
	v_or3_b32 v20, v96, v82, v20
.LBB4_656:                              ;   in Loop: Header=BB4_634 Depth=2
	s_or_b32 exec_lo, exec_lo, s8
	s_delay_alu instid0(VALU_DEP_1) | instskip(NEXT) | instid1(VALU_DEP_1)
	v_mul_f32_e32 v82, v0, v20
	v_and_b32_e32 v20, 0x7f800000, v82
	s_delay_alu instid0(VALU_DEP_1)
	v_cmp_ne_u32_e32 vcc_lo, 0x7f800000, v20
	v_mov_b32_e32 v20, 0x80
	s_and_saveexec_b32 s8, vcc_lo
	s_cbranch_execz .LBB4_664
; %bb.657:                              ;   in Loop: Header=BB4_634 Depth=2
	v_mov_b32_e32 v20, 0
	s_mov_b32 s18, exec_lo
	v_cmpx_ne_u32_e32 0, v82
	s_cbranch_execz .LBB4_663
; %bb.658:                              ;   in Loop: Header=BB4_634 Depth=2
	v_bfe_u32 v20, v82, 23, 8
	s_delay_alu instid0(VALU_DEP_1) | instskip(SKIP_1) | instid1(VALU_DEP_2)
	v_sub_nc_u32_e32 v97, 0x78, v20
	v_cmp_gt_u32_e32 vcc_lo, 0x79, v20
	v_dual_cndmask_b32 v97, 0, v97 :: v_dual_and_b32 v96, 0x7fffff, v82
	s_delay_alu instid0(VALU_DEP_1) | instskip(SKIP_2) | instid1(VALU_DEP_4)
	v_or_b32_e32 v134, 0x800000, v96
	v_cmp_eq_u32_e32 vcc_lo, 0, v20
	v_add_nc_u32_e32 v20, 0xffffff89, v20
	v_cndmask_b32_e64 v97, v97, 0x77, vcc_lo
	s_delay_alu instid0(VALU_DEP_4) | instskip(NEXT) | instid1(VALU_DEP_3)
	v_cndmask_b32_e32 v96, v134, v96, vcc_lo
	v_cndmask_b32_e64 v20, v20, 0xffffff8a, vcc_lo
	s_delay_alu instid0(VALU_DEP_3) | instskip(NEXT) | instid1(VALU_DEP_3)
	v_lshl_add_u32 v134, 0x100000, v97, -1
	v_lshrrev_b32_e32 v135, v97, v96
	v_lshlrev_b32_e64 v145, v97, 0x80000
	s_delay_alu instid0(VALU_DEP_4) | instskip(NEXT) | instid1(VALU_DEP_4)
	v_add_nc_u32_e32 v97, v97, v20
	v_and_b32_e32 v96, v134, v96
	s_delay_alu instid0(VALU_DEP_4) | instskip(NEXT) | instid1(VALU_DEP_2)
	v_bfe_u32 v144, v135, 20, 1
	v_cmp_eq_u32_e64 s7, v96, v145
	s_delay_alu instid0(VALU_DEP_2) | instskip(NEXT) | instid1(VALU_DEP_1)
	v_add_nc_u32_e32 v134, -1, v144
	v_cndmask_b32_e64 v96, 0, v134, s7
	v_lshrrev_b32_e32 v134, 23, v135
	s_mov_b32 s7, exec_lo
	s_delay_alu instid0(VALU_DEP_2) | instskip(NEXT) | instid1(VALU_DEP_2)
	v_add_nc_u32_e32 v96, v96, v135
	v_xor_b32_e32 v134, 1, v134
	s_delay_alu instid0(VALU_DEP_2) | instskip(NEXT) | instid1(VALU_DEP_1)
	v_and_b32_e32 v20, 0xfffff, v96
	v_add_nc_u32_e32 v96, v20, v135
                                        ; implicit-def: $vgpr20
	s_delay_alu instid0(VALU_DEP_3)
	v_cmpx_ne_u32_e64 v97, v134
	s_xor_b32 s7, exec_lo, s7
; %bb.659:                              ;   in Loop: Header=BB4_634 Depth=2
	s_delay_alu instid0(VALU_DEP_2) | instskip(SKIP_2) | instid1(VALU_DEP_2)
	v_cmp_lt_u32_e32 vcc_lo, 0xffffff, v96
	v_sub_nc_u32_e32 v20, v97, v134
	v_cndmask_b32_e64 v97, 0, 1, vcc_lo
	v_add_co_ci_u32_e32 v20, vcc_lo, 0, v20, vcc_lo
	s_delay_alu instid0(VALU_DEP_2)
	v_lshrrev_b32_e32 v96, v97, v96
; %bb.660:                              ;   in Loop: Header=BB4_634 Depth=2
	s_and_not1_saveexec_b32 s7, s7
; %bb.661:                              ;   in Loop: Header=BB4_634 Depth=2
	s_delay_alu instid0(VALU_DEP_1)
	v_bfe_u32 v20, v96, 23, 1
; %bb.662:                              ;   in Loop: Header=BB4_634 Depth=2
	s_or_b32 exec_lo, exec_lo, s7
	v_lshrrev_b32_e32 v96, 20, v96
	s_delay_alu instid0(VALU_DEP_2) | instskip(SKIP_2) | instid1(VALU_DEP_4)
	v_cmp_gt_i32_e32 vcc_lo, 16, v20
	v_lshrrev_b32_e32 v82, 24, v82
	v_min_i32_e32 v97, 15, v20
	v_cndmask_b32_e32 v96, 7, v96, vcc_lo
	s_delay_alu instid0(VALU_DEP_3) | instskip(NEXT) | instid1(VALU_DEP_3)
	v_and_b32_e32 v82, 0x80, v82
	v_lshlrev_b32_e32 v97, 3, v97
	s_delay_alu instid0(VALU_DEP_3) | instskip(SKIP_1) | instid1(VALU_DEP_2)
	v_and_b32_e32 v134, 7, v96
	v_or_b32_e32 v20, v20, v96
	v_or3_b32 v82, v97, v82, v134
	s_delay_alu instid0(VALU_DEP_2) | instskip(NEXT) | instid1(VALU_DEP_2)
	v_cmp_ne_u32_e32 vcc_lo, 0, v20
	v_cndmask_b32_e32 v20, 0, v82, vcc_lo
.LBB4_663:                              ;   in Loop: Header=BB4_634 Depth=2
	s_or_b32 exec_lo, exec_lo, s18
.LBB4_664:                              ;   in Loop: Header=BB4_634 Depth=2
	s_delay_alu instid0(SALU_CYCLE_1) | instskip(SKIP_3) | instid1(VALU_DEP_1)
	s_or_b32 exec_lo, exec_lo, s8
	v_lshrrev_b16 v82, 8, v81
	s_mov_b32 s7, 0
	s_mov_b32 s18, exec_lo
                                        ; implicit-def: $sgpr8
	v_cmpx_lt_i16_e32 0x7f, v82
	s_xor_b32 s18, exec_lo, s18
	s_cbranch_execnz .LBB4_898
; %bb.665:                              ;   in Loop: Header=BB4_634 Depth=2
	s_or_saveexec_b32 s18, s18
	v_mov_b32_e32 v96, s8
	s_xor_b32 exec_lo, exec_lo, s18
	s_cbranch_execnz .LBB4_901
.LBB4_666:                              ;   in Loop: Header=BB4_634 Depth=2
	s_or_b32 exec_lo, exec_lo, s18
	s_and_saveexec_b32 s8, s7
	s_cbranch_execz .LBB4_668
.LBB4_667:                              ;   in Loop: Header=BB4_634 Depth=2
	v_and_b32_e32 v96, 0xffff, v82
	v_lshlrev_b32_e32 v82, 24, v82
	s_delay_alu instid0(VALU_DEP_2) | instskip(NEXT) | instid1(VALU_DEP_2)
	v_and_b32_e32 v97, 7, v96
	v_and_b32_e32 v82, 0x80000000, v82
	s_delay_alu instid0(VALU_DEP_2) | instskip(NEXT) | instid1(VALU_DEP_1)
	v_clz_i32_u32_e32 v134, v97
	v_min_u32_e32 v134, 32, v134
	s_delay_alu instid0(VALU_DEP_1) | instskip(SKIP_1) | instid1(VALU_DEP_2)
	v_subrev_nc_u32_e32 v135, 28, v134
	v_sub_nc_u32_e32 v134, 29, v134
	v_lshlrev_b32_e32 v135, v135, v96
	v_bfe_u32 v96, v96, 3, 4
	s_delay_alu instid0(VALU_DEP_2) | instskip(NEXT) | instid1(VALU_DEP_2)
	v_and_b32_e32 v135, 7, v135
	v_cmp_eq_u32_e32 vcc_lo, 0, v96
	s_delay_alu instid0(VALU_DEP_2) | instskip(NEXT) | instid1(VALU_DEP_1)
	v_dual_cndmask_b32 v96, v96, v134 :: v_dual_cndmask_b32 v97, v97, v135
	v_lshl_add_u32 v96, v96, 23, 0x3b800000
	s_delay_alu instid0(VALU_DEP_2) | instskip(NEXT) | instid1(VALU_DEP_1)
	v_lshlrev_b32_e32 v97, 20, v97
	v_or3_b32 v96, v82, v96, v97
.LBB4_668:                              ;   in Loop: Header=BB4_634 Depth=2
	s_or_b32 exec_lo, exec_lo, s8
	s_delay_alu instid0(VALU_DEP_1) | instskip(NEXT) | instid1(VALU_DEP_1)
	v_mul_f32_e32 v96, v0, v96
	v_and_b32_e32 v82, 0x7f800000, v96
	s_delay_alu instid0(VALU_DEP_1)
	v_cmp_ne_u32_e32 vcc_lo, 0x7f800000, v82
	v_mov_b32_e32 v82, 0x80
	s_and_saveexec_b32 s8, vcc_lo
	s_cbranch_execz .LBB4_676
; %bb.669:                              ;   in Loop: Header=BB4_634 Depth=2
	v_mov_b32_e32 v82, 0
	s_mov_b32 s18, exec_lo
	v_cmpx_ne_u32_e32 0, v96
	s_cbranch_execz .LBB4_675
; %bb.670:                              ;   in Loop: Header=BB4_634 Depth=2
	v_bfe_u32 v82, v96, 23, 8
	s_delay_alu instid0(VALU_DEP_1) | instskip(SKIP_1) | instid1(VALU_DEP_2)
	v_sub_nc_u32_e32 v134, 0x78, v82
	v_cmp_gt_u32_e32 vcc_lo, 0x79, v82
	v_dual_cndmask_b32 v134, 0, v134 :: v_dual_and_b32 v97, 0x7fffff, v96
	s_delay_alu instid0(VALU_DEP_1) | instskip(SKIP_2) | instid1(VALU_DEP_4)
	v_or_b32_e32 v135, 0x800000, v97
	v_cmp_eq_u32_e32 vcc_lo, 0, v82
	v_add_nc_u32_e32 v82, 0xffffff89, v82
	v_cndmask_b32_e64 v134, v134, 0x77, vcc_lo
	s_delay_alu instid0(VALU_DEP_4) | instskip(NEXT) | instid1(VALU_DEP_3)
	v_cndmask_b32_e32 v97, v135, v97, vcc_lo
	v_cndmask_b32_e64 v82, v82, 0xffffff8a, vcc_lo
	s_delay_alu instid0(VALU_DEP_3) | instskip(NEXT) | instid1(VALU_DEP_3)
	v_lshl_add_u32 v135, 0x100000, v134, -1
	v_lshrrev_b32_e32 v144, v134, v97
	v_lshlrev_b32_e64 v146, v134, 0x80000
	s_delay_alu instid0(VALU_DEP_4) | instskip(NEXT) | instid1(VALU_DEP_4)
	v_add_nc_u32_e32 v134, v134, v82
	v_and_b32_e32 v97, v135, v97
	s_delay_alu instid0(VALU_DEP_4) | instskip(NEXT) | instid1(VALU_DEP_2)
	v_bfe_u32 v145, v144, 20, 1
	v_cmp_eq_u32_e64 s7, v97, v146
	s_delay_alu instid0(VALU_DEP_2) | instskip(NEXT) | instid1(VALU_DEP_1)
	v_add_nc_u32_e32 v135, -1, v145
	v_cndmask_b32_e64 v97, 0, v135, s7
	v_lshrrev_b32_e32 v135, 23, v144
	s_mov_b32 s7, exec_lo
	s_delay_alu instid0(VALU_DEP_2) | instskip(NEXT) | instid1(VALU_DEP_2)
	v_add_nc_u32_e32 v97, v97, v144
	v_xor_b32_e32 v135, 1, v135
	s_delay_alu instid0(VALU_DEP_2) | instskip(NEXT) | instid1(VALU_DEP_1)
	v_and_b32_e32 v82, 0xfffff, v97
	v_add_nc_u32_e32 v97, v82, v144
                                        ; implicit-def: $vgpr82
	s_delay_alu instid0(VALU_DEP_3)
	v_cmpx_ne_u32_e64 v134, v135
	s_xor_b32 s7, exec_lo, s7
; %bb.671:                              ;   in Loop: Header=BB4_634 Depth=2
	s_delay_alu instid0(VALU_DEP_2) | instskip(SKIP_2) | instid1(VALU_DEP_2)
	v_cmp_lt_u32_e32 vcc_lo, 0xffffff, v97
	v_sub_nc_u32_e32 v82, v134, v135
	v_cndmask_b32_e64 v134, 0, 1, vcc_lo
	v_add_co_ci_u32_e32 v82, vcc_lo, 0, v82, vcc_lo
	s_delay_alu instid0(VALU_DEP_2)
	v_lshrrev_b32_e32 v97, v134, v97
; %bb.672:                              ;   in Loop: Header=BB4_634 Depth=2
	s_and_not1_saveexec_b32 s7, s7
; %bb.673:                              ;   in Loop: Header=BB4_634 Depth=2
	s_delay_alu instid0(VALU_DEP_1)
	v_bfe_u32 v82, v97, 23, 1
; %bb.674:                              ;   in Loop: Header=BB4_634 Depth=2
	s_or_b32 exec_lo, exec_lo, s7
	v_lshrrev_b32_e32 v97, 20, v97
	s_delay_alu instid0(VALU_DEP_2) | instskip(SKIP_2) | instid1(VALU_DEP_2)
	v_cmp_gt_i32_e32 vcc_lo, 16, v82
	v_lshrrev_b32_e32 v96, 24, v96
	v_min_i32_e32 v134, 15, v82
	v_dual_cndmask_b32 v97, 7, v97 :: v_dual_and_b32 v96, 0x80, v96
	s_delay_alu instid0(VALU_DEP_2) | instskip(NEXT) | instid1(VALU_DEP_2)
	v_lshlrev_b32_e32 v134, 3, v134
	v_or_b32_e32 v82, v82, v97
	s_delay_alu instid0(VALU_DEP_1) | instskip(SKIP_1) | instid1(VALU_DEP_1)
	v_cmp_ne_u32_e32 vcc_lo, 0, v82
	v_and_b32_e32 v135, 7, v97
	v_or3_b32 v96, v134, v96, v135
	s_delay_alu instid0(VALU_DEP_1)
	v_cndmask_b32_e32 v82, 0, v96, vcc_lo
.LBB4_675:                              ;   in Loop: Header=BB4_634 Depth=2
	s_or_b32 exec_lo, exec_lo, s18
.LBB4_676:                              ;   in Loop: Header=BB4_634 Depth=2
	s_delay_alu instid0(SALU_CYCLE_1) | instskip(SKIP_3) | instid1(VALU_DEP_1)
	s_or_b32 exec_lo, exec_lo, s8
	v_lshrrev_b32_e32 v96, 16, v81
	s_mov_b32 s7, 0
	s_mov_b32 s18, exec_lo
                                        ; implicit-def: $sgpr8
	v_and_b32_e32 v134, 0xff, v96
	s_delay_alu instid0(VALU_DEP_1)
	v_cmpx_lt_i16_e64 0x7f, v134
	s_xor_b32 s18, exec_lo, s18
	s_cbranch_execnz .LBB4_902
; %bb.677:                              ;   in Loop: Header=BB4_634 Depth=2
	s_or_saveexec_b32 s18, s18
	v_mov_b32_e32 v97, s8
	s_xor_b32 exec_lo, exec_lo, s18
	s_cbranch_execnz .LBB4_905
.LBB4_678:                              ;   in Loop: Header=BB4_634 Depth=2
	s_or_b32 exec_lo, exec_lo, s18
	s_and_saveexec_b32 s8, s7
	s_cbranch_execz .LBB4_680
.LBB4_679:                              ;   in Loop: Header=BB4_634 Depth=2
	v_bfe_u32 v97, v81, 16, 3
	v_lshlrev_b32_e32 v144, 8, v81
	s_delay_alu instid0(VALU_DEP_2) | instskip(NEXT) | instid1(VALU_DEP_1)
	v_clz_i32_u32_e32 v134, v97
	v_min_u32_e32 v134, 32, v134
	s_delay_alu instid0(VALU_DEP_1) | instskip(SKIP_1) | instid1(VALU_DEP_2)
	v_subrev_nc_u32_e32 v135, 28, v134
	v_sub_nc_u32_e32 v134, 29, v134
	v_lshlrev_b32_e32 v96, v135, v96
	v_bfe_u32 v135, v81, 19, 4
	s_delay_alu instid0(VALU_DEP_2) | instskip(NEXT) | instid1(VALU_DEP_2)
	v_and_b32_e32 v96, 7, v96
	v_cmp_eq_u32_e32 vcc_lo, 0, v135
	v_cndmask_b32_e32 v134, v135, v134, vcc_lo
	s_delay_alu instid0(VALU_DEP_3) | instskip(SKIP_1) | instid1(VALU_DEP_3)
	v_cndmask_b32_e32 v96, v97, v96, vcc_lo
	v_and_b32_e32 v97, 0x80000000, v144
	v_lshl_add_u32 v134, v134, 23, 0x3b800000
	s_delay_alu instid0(VALU_DEP_3) | instskip(NEXT) | instid1(VALU_DEP_1)
	v_lshlrev_b32_e32 v96, 20, v96
	v_or3_b32 v97, v97, v134, v96
.LBB4_680:                              ;   in Loop: Header=BB4_634 Depth=2
	s_or_b32 exec_lo, exec_lo, s8
	s_delay_alu instid0(VALU_DEP_1) | instskip(NEXT) | instid1(VALU_DEP_1)
	v_mul_f32_e32 v96, v0, v97
	v_and_b32_e32 v97, 0x7f800000, v96
	s_delay_alu instid0(VALU_DEP_1)
	v_cmp_ne_u32_e32 vcc_lo, 0x7f800000, v97
	v_mov_b32_e32 v97, 0x80
	s_and_saveexec_b32 s8, vcc_lo
	s_cbranch_execz .LBB4_688
; %bb.681:                              ;   in Loop: Header=BB4_634 Depth=2
	v_mov_b32_e32 v97, 0
	s_mov_b32 s18, exec_lo
	v_cmpx_ne_u32_e32 0, v96
	s_cbranch_execz .LBB4_687
; %bb.682:                              ;   in Loop: Header=BB4_634 Depth=2
	v_bfe_u32 v97, v96, 23, 8
	s_delay_alu instid0(VALU_DEP_1) | instskip(SKIP_1) | instid1(VALU_DEP_2)
	v_sub_nc_u32_e32 v135, 0x78, v97
	v_cmp_gt_u32_e32 vcc_lo, 0x79, v97
	v_dual_cndmask_b32 v135, 0, v135 :: v_dual_and_b32 v134, 0x7fffff, v96
	s_delay_alu instid0(VALU_DEP_1) | instskip(SKIP_2) | instid1(VALU_DEP_4)
	v_or_b32_e32 v144, 0x800000, v134
	v_cmp_eq_u32_e32 vcc_lo, 0, v97
	v_add_nc_u32_e32 v97, 0xffffff89, v97
	v_cndmask_b32_e64 v135, v135, 0x77, vcc_lo
	s_delay_alu instid0(VALU_DEP_4) | instskip(NEXT) | instid1(VALU_DEP_3)
	v_cndmask_b32_e32 v134, v144, v134, vcc_lo
	v_cndmask_b32_e64 v97, v97, 0xffffff8a, vcc_lo
	s_delay_alu instid0(VALU_DEP_3) | instskip(NEXT) | instid1(VALU_DEP_3)
	v_lshl_add_u32 v144, 0x100000, v135, -1
	v_lshrrev_b32_e32 v145, v135, v134
	v_lshlrev_b32_e64 v147, v135, 0x80000
	s_delay_alu instid0(VALU_DEP_4) | instskip(NEXT) | instid1(VALU_DEP_4)
	v_add_nc_u32_e32 v135, v135, v97
	v_and_b32_e32 v134, v144, v134
	s_delay_alu instid0(VALU_DEP_4) | instskip(NEXT) | instid1(VALU_DEP_2)
	v_bfe_u32 v146, v145, 20, 1
	v_cmp_eq_u32_e64 s7, v134, v147
	s_delay_alu instid0(VALU_DEP_2) | instskip(NEXT) | instid1(VALU_DEP_1)
	v_add_nc_u32_e32 v144, -1, v146
	v_cndmask_b32_e64 v134, 0, v144, s7
	v_lshrrev_b32_e32 v144, 23, v145
	s_mov_b32 s7, exec_lo
	s_delay_alu instid0(VALU_DEP_2) | instskip(NEXT) | instid1(VALU_DEP_2)
	v_add_nc_u32_e32 v134, v134, v145
	v_xor_b32_e32 v144, 1, v144
	s_delay_alu instid0(VALU_DEP_2) | instskip(NEXT) | instid1(VALU_DEP_1)
	v_and_b32_e32 v97, 0xfffff, v134
	v_add_nc_u32_e32 v134, v97, v145
                                        ; implicit-def: $vgpr97
	s_delay_alu instid0(VALU_DEP_3)
	v_cmpx_ne_u32_e64 v135, v144
	s_xor_b32 s7, exec_lo, s7
; %bb.683:                              ;   in Loop: Header=BB4_634 Depth=2
	s_delay_alu instid0(VALU_DEP_2) | instskip(SKIP_2) | instid1(VALU_DEP_2)
	v_cmp_lt_u32_e32 vcc_lo, 0xffffff, v134
	v_sub_nc_u32_e32 v97, v135, v144
	v_cndmask_b32_e64 v135, 0, 1, vcc_lo
	v_add_co_ci_u32_e32 v97, vcc_lo, 0, v97, vcc_lo
	s_delay_alu instid0(VALU_DEP_2)
	v_lshrrev_b32_e32 v134, v135, v134
; %bb.684:                              ;   in Loop: Header=BB4_634 Depth=2
	s_and_not1_saveexec_b32 s7, s7
; %bb.685:                              ;   in Loop: Header=BB4_634 Depth=2
	s_delay_alu instid0(VALU_DEP_1)
	v_bfe_u32 v97, v134, 23, 1
; %bb.686:                              ;   in Loop: Header=BB4_634 Depth=2
	s_or_b32 exec_lo, exec_lo, s7
	v_lshrrev_b32_e32 v134, 20, v134
	s_delay_alu instid0(VALU_DEP_2) | instskip(SKIP_2) | instid1(VALU_DEP_2)
	v_cmp_gt_i32_e32 vcc_lo, 16, v97
	v_min_i32_e32 v135, 15, v97
	v_lshrrev_b32_e32 v96, 24, v96
	v_dual_cndmask_b32 v134, 7, v134 :: v_dual_lshlrev_b32 v135, 3, v135
	s_delay_alu instid0(VALU_DEP_2) | instskip(NEXT) | instid1(VALU_DEP_2)
	v_and_b32_e32 v96, 0x80, v96
	v_or_b32_e32 v97, v97, v134
	s_delay_alu instid0(VALU_DEP_1) | instskip(SKIP_1) | instid1(VALU_DEP_1)
	v_cmp_ne_u32_e32 vcc_lo, 0, v97
	v_and_b32_e32 v144, 7, v134
	v_or3_b32 v96, v135, v96, v144
	s_delay_alu instid0(VALU_DEP_1)
	v_cndmask_b32_e32 v97, 0, v96, vcc_lo
.LBB4_687:                              ;   in Loop: Header=BB4_634 Depth=2
	s_or_b32 exec_lo, exec_lo, s18
.LBB4_688:                              ;   in Loop: Header=BB4_634 Depth=2
	s_delay_alu instid0(SALU_CYCLE_1) | instskip(SKIP_3) | instid1(VALU_DEP_1)
	s_or_b32 exec_lo, exec_lo, s8
	v_lshrrev_b32_e32 v96, 24, v81
	s_mov_b32 s7, 0
	s_mov_b32 s18, exec_lo
                                        ; implicit-def: $sgpr8
	v_cmpx_lt_i16_e32 0x7f, v96
	s_xor_b32 s18, exec_lo, s18
	s_cbranch_execnz .LBB4_906
; %bb.689:                              ;   in Loop: Header=BB4_634 Depth=2
	s_or_saveexec_b32 s18, s18
	v_mov_b32_e32 v134, s8
	s_xor_b32 exec_lo, exec_lo, s18
	s_cbranch_execnz .LBB4_909
.LBB4_690:                              ;   in Loop: Header=BB4_634 Depth=2
	s_or_b32 exec_lo, exec_lo, s18
	s_and_saveexec_b32 s8, s7
	s_cbranch_execz .LBB4_692
.LBB4_691:                              ;   in Loop: Header=BB4_634 Depth=2
	v_bfe_u32 v134, v81, 24, 3
	s_delay_alu instid0(VALU_DEP_1) | instskip(NEXT) | instid1(VALU_DEP_1)
	v_clz_i32_u32_e32 v135, v134
	v_min_u32_e32 v135, 32, v135
	s_delay_alu instid0(VALU_DEP_1) | instskip(SKIP_1) | instid1(VALU_DEP_2)
	v_subrev_nc_u32_e32 v144, 28, v135
	v_sub_nc_u32_e32 v135, 29, v135
	v_lshlrev_b32_e32 v96, v144, v96
	v_bfe_u32 v144, v81, 27, 4
	v_and_b32_e32 v81, 0x80000000, v81
	s_delay_alu instid0(VALU_DEP_2) | instskip(NEXT) | instid1(VALU_DEP_4)
	v_cmp_eq_u32_e32 vcc_lo, 0, v144
	v_dual_cndmask_b32 v135, v144, v135 :: v_dual_and_b32 v96, 7, v96
	s_delay_alu instid0(VALU_DEP_1) | instskip(NEXT) | instid1(VALU_DEP_2)
	v_cndmask_b32_e32 v96, v134, v96, vcc_lo
	v_lshl_add_u32 v134, v135, 23, 0x3b800000
	s_delay_alu instid0(VALU_DEP_2) | instskip(NEXT) | instid1(VALU_DEP_1)
	v_lshlrev_b32_e32 v96, 20, v96
	v_or3_b32 v134, v81, v134, v96
.LBB4_692:                              ;   in Loop: Header=BB4_634 Depth=2
	s_or_b32 exec_lo, exec_lo, s8
	s_delay_alu instid0(VALU_DEP_1) | instskip(NEXT) | instid1(VALU_DEP_1)
	v_mul_f32_e32 v81, v0, v134
	v_and_b32_e32 v96, 0x7f800000, v81
	s_delay_alu instid0(VALU_DEP_1)
	v_cmp_ne_u32_e32 vcc_lo, 0x7f800000, v96
	v_mov_b32_e32 v96, 0x80
	s_and_saveexec_b32 s8, vcc_lo
	s_cbranch_execz .LBB4_700
; %bb.693:                              ;   in Loop: Header=BB4_634 Depth=2
	v_mov_b32_e32 v96, 0
	s_mov_b32 s18, exec_lo
	v_cmpx_ne_u32_e32 0, v81
	s_cbranch_execz .LBB4_699
; %bb.694:                              ;   in Loop: Header=BB4_634 Depth=2
	v_bfe_u32 v96, v81, 23, 8
	s_delay_alu instid0(VALU_DEP_1) | instskip(SKIP_1) | instid1(VALU_DEP_2)
	v_sub_nc_u32_e32 v135, 0x78, v96
	v_cmp_gt_u32_e32 vcc_lo, 0x79, v96
	v_dual_cndmask_b32 v135, 0, v135 :: v_dual_and_b32 v134, 0x7fffff, v81
	s_delay_alu instid0(VALU_DEP_1) | instskip(SKIP_2) | instid1(VALU_DEP_4)
	v_or_b32_e32 v144, 0x800000, v134
	v_cmp_eq_u32_e32 vcc_lo, 0, v96
	v_add_nc_u32_e32 v96, 0xffffff89, v96
	v_cndmask_b32_e64 v135, v135, 0x77, vcc_lo
	s_delay_alu instid0(VALU_DEP_2) | instskip(SKIP_1) | instid1(VALU_DEP_3)
	v_cndmask_b32_e64 v96, v96, 0xffffff8a, vcc_lo
	v_cndmask_b32_e32 v134, v144, v134, vcc_lo
	v_lshl_add_u32 v144, 0x100000, v135, -1
	v_lshlrev_b32_e64 v147, v135, 0x80000
	s_delay_alu instid0(VALU_DEP_3) | instskip(SKIP_1) | instid1(VALU_DEP_4)
	v_lshrrev_b32_e32 v145, v135, v134
	v_add_nc_u32_e32 v135, v135, v96
	v_and_b32_e32 v134, v144, v134
	s_delay_alu instid0(VALU_DEP_3) | instskip(NEXT) | instid1(VALU_DEP_2)
	v_bfe_u32 v146, v145, 20, 1
	v_cmp_eq_u32_e64 s7, v134, v147
	s_delay_alu instid0(VALU_DEP_2) | instskip(NEXT) | instid1(VALU_DEP_1)
	v_add_nc_u32_e32 v144, -1, v146
	v_cndmask_b32_e64 v134, 0, v144, s7
	v_lshrrev_b32_e32 v144, 23, v145
	s_mov_b32 s7, exec_lo
	s_delay_alu instid0(VALU_DEP_2) | instskip(NEXT) | instid1(VALU_DEP_2)
	v_add_nc_u32_e32 v134, v134, v145
	v_xor_b32_e32 v144, 1, v144
	s_delay_alu instid0(VALU_DEP_2) | instskip(NEXT) | instid1(VALU_DEP_1)
	v_and_b32_e32 v96, 0xfffff, v134
	v_add_nc_u32_e32 v134, v96, v145
                                        ; implicit-def: $vgpr96
	s_delay_alu instid0(VALU_DEP_3)
	v_cmpx_ne_u32_e64 v135, v144
	s_xor_b32 s7, exec_lo, s7
; %bb.695:                              ;   in Loop: Header=BB4_634 Depth=2
	s_delay_alu instid0(VALU_DEP_2) | instskip(SKIP_2) | instid1(VALU_DEP_2)
	v_cmp_lt_u32_e32 vcc_lo, 0xffffff, v134
	v_sub_nc_u32_e32 v96, v135, v144
	v_cndmask_b32_e64 v135, 0, 1, vcc_lo
	v_add_co_ci_u32_e32 v96, vcc_lo, 0, v96, vcc_lo
	s_delay_alu instid0(VALU_DEP_2)
	v_lshrrev_b32_e32 v134, v135, v134
; %bb.696:                              ;   in Loop: Header=BB4_634 Depth=2
	s_and_not1_saveexec_b32 s7, s7
; %bb.697:                              ;   in Loop: Header=BB4_634 Depth=2
	s_delay_alu instid0(VALU_DEP_1)
	v_bfe_u32 v96, v134, 23, 1
; %bb.698:                              ;   in Loop: Header=BB4_634 Depth=2
	s_or_b32 exec_lo, exec_lo, s7
	v_lshrrev_b32_e32 v134, 20, v134
	s_delay_alu instid0(VALU_DEP_2) | instskip(SKIP_2) | instid1(VALU_DEP_2)
	v_cmp_gt_i32_e32 vcc_lo, 16, v96
	v_lshrrev_b32_e32 v81, 24, v81
	v_min_i32_e32 v135, 15, v96
	v_dual_cndmask_b32 v134, 7, v134 :: v_dual_and_b32 v81, 0x80, v81
	s_delay_alu instid0(VALU_DEP_1) | instskip(SKIP_1) | instid1(VALU_DEP_2)
	v_or_b32_e32 v96, v96, v134
	v_and_b32_e32 v144, 7, v134
	v_cmp_ne_u32_e32 vcc_lo, 0, v96
	v_lshlrev_b32_e32 v135, 3, v135
	s_delay_alu instid0(VALU_DEP_1) | instskip(NEXT) | instid1(VALU_DEP_1)
	v_or3_b32 v81, v135, v81, v144
	v_cndmask_b32_e32 v96, 0, v81, vcc_lo
.LBB4_699:                              ;   in Loop: Header=BB4_634 Depth=2
	s_or_b32 exec_lo, exec_lo, s18
.LBB4_700:                              ;   in Loop: Header=BB4_634 Depth=2
	s_delay_alu instid0(SALU_CYCLE_1) | instskip(SKIP_3) | instid1(VALU_DEP_1)
	s_or_b32 exec_lo, exec_lo, s8
	v_alignbit_b32 v87, v87, v133, v18
	s_mov_b32 s7, 0
	s_mov_b32 s18, exec_lo
                                        ; implicit-def: $sgpr8
	v_and_b32_e32 v81, 0xff, v87
	s_delay_alu instid0(VALU_DEP_1)
	v_cmpx_lt_i16_e32 0x7f, v81
	s_xor_b32 s18, exec_lo, s18
	s_cbranch_execnz .LBB4_910
; %bb.701:                              ;   in Loop: Header=BB4_634 Depth=2
	s_or_saveexec_b32 s18, s18
	v_mov_b32_e32 v18, s8
	s_xor_b32 exec_lo, exec_lo, s18
	s_cbranch_execnz .LBB4_913
.LBB4_702:                              ;   in Loop: Header=BB4_634 Depth=2
	s_or_b32 exec_lo, exec_lo, s18
	s_and_saveexec_b32 s8, s7
	s_cbranch_execz .LBB4_704
.LBB4_703:                              ;   in Loop: Header=BB4_634 Depth=2
	v_bfe_u32 v134, v87, 3, 4
	s_delay_alu instid0(VALU_DEP_1) | instskip(SKIP_1) | instid1(VALU_DEP_1)
	v_cmp_eq_u32_e32 vcc_lo, 0, v134
	v_and_b32_e32 v18, 7, v87
	v_clz_i32_u32_e32 v81, v18
	s_delay_alu instid0(VALU_DEP_1) | instskip(NEXT) | instid1(VALU_DEP_1)
	v_min_u32_e32 v81, 32, v81
	v_subrev_nc_u32_e32 v133, 28, v81
	v_sub_nc_u32_e32 v81, 29, v81
	s_delay_alu instid0(VALU_DEP_2) | instskip(NEXT) | instid1(VALU_DEP_2)
	v_lshlrev_b32_e32 v133, v133, v87
	v_cndmask_b32_e32 v81, v134, v81, vcc_lo
	s_delay_alu instid0(VALU_DEP_2) | instskip(SKIP_1) | instid1(VALU_DEP_3)
	v_and_b32_e32 v133, 7, v133
	v_lshlrev_b32_e32 v135, 24, v87
	v_lshl_add_u32 v81, v81, 23, 0x3b800000
	s_delay_alu instid0(VALU_DEP_2) | instskip(NEXT) | instid1(VALU_DEP_1)
	v_dual_cndmask_b32 v18, v18, v133 :: v_dual_and_b32 v133, 0x80000000, v135
	v_lshlrev_b32_e32 v18, 20, v18
	s_delay_alu instid0(VALU_DEP_1)
	v_or3_b32 v18, v133, v81, v18
.LBB4_704:                              ;   in Loop: Header=BB4_634 Depth=2
	s_or_b32 exec_lo, exec_lo, s8
	s_delay_alu instid0(VALU_DEP_1) | instskip(NEXT) | instid1(VALU_DEP_1)
	v_mul_f32_e32 v18, v0, v18
	v_and_b32_e32 v81, 0x7f800000, v18
	s_delay_alu instid0(VALU_DEP_1)
	v_cmp_ne_u32_e32 vcc_lo, 0x7f800000, v81
	v_mov_b32_e32 v81, 0x80
	s_and_saveexec_b32 s8, vcc_lo
	s_cbranch_execz .LBB4_712
; %bb.705:                              ;   in Loop: Header=BB4_634 Depth=2
	v_mov_b32_e32 v81, 0
	s_mov_b32 s18, exec_lo
	v_cmpx_ne_u32_e32 0, v18
	s_cbranch_execz .LBB4_711
; %bb.706:                              ;   in Loop: Header=BB4_634 Depth=2
	v_bfe_u32 v81, v18, 23, 8
	v_and_b32_e32 v133, 0x7fffff, v18
	s_delay_alu instid0(VALU_DEP_2) | instskip(SKIP_1) | instid1(VALU_DEP_3)
	v_sub_nc_u32_e32 v134, 0x78, v81
	v_cmp_gt_u32_e32 vcc_lo, 0x79, v81
	v_or_b32_e32 v135, 0x800000, v133
	s_delay_alu instid0(VALU_DEP_3) | instskip(SKIP_2) | instid1(VALU_DEP_4)
	v_cndmask_b32_e32 v134, 0, v134, vcc_lo
	v_cmp_eq_u32_e32 vcc_lo, 0, v81
	v_add_nc_u32_e32 v81, 0xffffff89, v81
	v_cndmask_b32_e32 v133, v135, v133, vcc_lo
	s_delay_alu instid0(VALU_DEP_4) | instskip(NEXT) | instid1(VALU_DEP_3)
	v_cndmask_b32_e64 v134, v134, 0x77, vcc_lo
	v_cndmask_b32_e64 v81, v81, 0xffffff8a, vcc_lo
	s_delay_alu instid0(VALU_DEP_2) | instskip(SKIP_2) | instid1(VALU_DEP_4)
	v_lshrrev_b32_e32 v144, v134, v133
	v_lshl_add_u32 v135, 0x100000, v134, -1
	v_lshlrev_b32_e64 v146, v134, 0x80000
	v_add_nc_u32_e32 v134, v134, v81
	s_delay_alu instid0(VALU_DEP_4) | instskip(NEXT) | instid1(VALU_DEP_4)
	v_bfe_u32 v145, v144, 20, 1
	v_and_b32_e32 v133, v135, v133
	s_delay_alu instid0(VALU_DEP_2) | instskip(NEXT) | instid1(VALU_DEP_2)
	v_add_nc_u32_e32 v135, -1, v145
	v_cmp_eq_u32_e64 s7, v133, v146
	s_delay_alu instid0(VALU_DEP_1) | instskip(SKIP_2) | instid1(VALU_DEP_2)
	v_cndmask_b32_e64 v133, 0, v135, s7
	v_lshrrev_b32_e32 v135, 23, v144
	s_mov_b32 s7, exec_lo
	v_add_nc_u32_e32 v133, v133, v144
	s_delay_alu instid0(VALU_DEP_2) | instskip(NEXT) | instid1(VALU_DEP_2)
	v_xor_b32_e32 v135, 1, v135
	v_and_b32_e32 v81, 0xfffff, v133
	s_delay_alu instid0(VALU_DEP_1) | instskip(NEXT) | instid1(VALU_DEP_3)
	v_add_nc_u32_e32 v133, v81, v144
                                        ; implicit-def: $vgpr81
	v_cmpx_ne_u32_e64 v134, v135
	s_xor_b32 s7, exec_lo, s7
; %bb.707:                              ;   in Loop: Header=BB4_634 Depth=2
	s_delay_alu instid0(VALU_DEP_2) | instskip(SKIP_2) | instid1(VALU_DEP_2)
	v_cmp_lt_u32_e32 vcc_lo, 0xffffff, v133
	v_sub_nc_u32_e32 v81, v134, v135
	v_cndmask_b32_e64 v134, 0, 1, vcc_lo
	v_add_co_ci_u32_e32 v81, vcc_lo, 0, v81, vcc_lo
	s_delay_alu instid0(VALU_DEP_2)
	v_lshrrev_b32_e32 v133, v134, v133
; %bb.708:                              ;   in Loop: Header=BB4_634 Depth=2
	s_and_not1_saveexec_b32 s7, s7
; %bb.709:                              ;   in Loop: Header=BB4_634 Depth=2
	s_delay_alu instid0(VALU_DEP_1)
	v_bfe_u32 v81, v133, 23, 1
; %bb.710:                              ;   in Loop: Header=BB4_634 Depth=2
	s_or_b32 exec_lo, exec_lo, s7
	v_lshrrev_b32_e32 v133, 20, v133
	s_delay_alu instid0(VALU_DEP_2) | instskip(SKIP_2) | instid1(VALU_DEP_3)
	v_min_i32_e32 v134, 15, v81
	v_cmp_gt_i32_e32 vcc_lo, 16, v81
	v_lshrrev_b32_e32 v18, 24, v18
	v_dual_cndmask_b32 v133, 7, v133 :: v_dual_lshlrev_b32 v134, 3, v134
	s_delay_alu instid0(VALU_DEP_2) | instskip(NEXT) | instid1(VALU_DEP_2)
	v_and_b32_e32 v18, 0x80, v18
	v_and_b32_e32 v134, 0xf8, v134
	s_delay_alu instid0(VALU_DEP_3) | instskip(SKIP_1) | instid1(VALU_DEP_2)
	v_and_b32_e32 v135, 7, v133
	v_or_b32_e32 v81, v81, v133
	v_or3_b32 v18, v134, v18, v135
	s_delay_alu instid0(VALU_DEP_2) | instskip(NEXT) | instid1(VALU_DEP_2)
	v_cmp_ne_u32_e32 vcc_lo, 0, v81
	v_cndmask_b32_e32 v81, 0, v18, vcc_lo
.LBB4_711:                              ;   in Loop: Header=BB4_634 Depth=2
	s_or_b32 exec_lo, exec_lo, s18
.LBB4_712:                              ;   in Loop: Header=BB4_634 Depth=2
	s_delay_alu instid0(SALU_CYCLE_1) | instskip(SKIP_3) | instid1(VALU_DEP_1)
	s_or_b32 exec_lo, exec_lo, s8
	v_lshrrev_b16 v18, 8, v87
	s_mov_b32 s7, 0
	s_mov_b32 s18, exec_lo
                                        ; implicit-def: $sgpr8
	v_cmpx_lt_i16_e32 0x7f, v18
	s_xor_b32 s18, exec_lo, s18
	s_cbranch_execnz .LBB4_914
; %bb.713:                              ;   in Loop: Header=BB4_634 Depth=2
	s_or_saveexec_b32 s18, s18
	v_mov_b32_e32 v133, s8
	s_xor_b32 exec_lo, exec_lo, s18
	s_cbranch_execnz .LBB4_917
.LBB4_714:                              ;   in Loop: Header=BB4_634 Depth=2
	s_or_b32 exec_lo, exec_lo, s18
	s_and_saveexec_b32 s8, s7
	s_cbranch_execz .LBB4_716
.LBB4_715:                              ;   in Loop: Header=BB4_634 Depth=2
	v_and_b32_e32 v133, 0xffff, v18
	v_lshlrev_b32_e32 v18, 24, v18
	s_delay_alu instid0(VALU_DEP_2) | instskip(NEXT) | instid1(VALU_DEP_2)
	v_and_b32_e32 v134, 7, v133
	v_and_b32_e32 v18, 0x80000000, v18
	s_delay_alu instid0(VALU_DEP_2) | instskip(NEXT) | instid1(VALU_DEP_1)
	v_clz_i32_u32_e32 v135, v134
	v_min_u32_e32 v135, 32, v135
	s_delay_alu instid0(VALU_DEP_1) | instskip(SKIP_1) | instid1(VALU_DEP_2)
	v_subrev_nc_u32_e32 v144, 28, v135
	v_sub_nc_u32_e32 v135, 29, v135
	v_lshlrev_b32_e32 v144, v144, v133
	v_bfe_u32 v133, v133, 3, 4
	s_delay_alu instid0(VALU_DEP_2) | instskip(NEXT) | instid1(VALU_DEP_2)
	v_and_b32_e32 v144, 7, v144
	v_cmp_eq_u32_e32 vcc_lo, 0, v133
	s_delay_alu instid0(VALU_DEP_2) | instskip(NEXT) | instid1(VALU_DEP_1)
	v_dual_cndmask_b32 v133, v133, v135 :: v_dual_cndmask_b32 v134, v134, v144
	v_lshl_add_u32 v133, v133, 23, 0x3b800000
	s_delay_alu instid0(VALU_DEP_2) | instskip(NEXT) | instid1(VALU_DEP_1)
	v_lshlrev_b32_e32 v134, 20, v134
	v_or3_b32 v133, v18, v133, v134
.LBB4_716:                              ;   in Loop: Header=BB4_634 Depth=2
	s_or_b32 exec_lo, exec_lo, s8
	s_delay_alu instid0(VALU_DEP_1) | instskip(NEXT) | instid1(VALU_DEP_1)
	v_mul_f32_e32 v18, v0, v133
	v_and_b32_e32 v133, 0x7f800000, v18
	s_delay_alu instid0(VALU_DEP_1)
	v_cmp_ne_u32_e32 vcc_lo, 0x7f800000, v133
	v_mov_b32_e32 v133, 0x8000
	s_and_saveexec_b32 s8, vcc_lo
	s_cbranch_execz .LBB4_724
; %bb.717:                              ;   in Loop: Header=BB4_634 Depth=2
	v_mov_b32_e32 v133, 0
	s_mov_b32 s18, exec_lo
	v_cmpx_ne_u32_e32 0, v18
	s_cbranch_execz .LBB4_723
; %bb.718:                              ;   in Loop: Header=BB4_634 Depth=2
	v_bfe_u32 v133, v18, 23, 8
	s_delay_alu instid0(VALU_DEP_1) | instskip(SKIP_1) | instid1(VALU_DEP_2)
	v_sub_nc_u32_e32 v135, 0x78, v133
	v_cmp_gt_u32_e32 vcc_lo, 0x79, v133
	v_dual_cndmask_b32 v135, 0, v135 :: v_dual_and_b32 v134, 0x7fffff, v18
	s_delay_alu instid0(VALU_DEP_1) | instskip(SKIP_2) | instid1(VALU_DEP_4)
	v_or_b32_e32 v144, 0x800000, v134
	v_cmp_eq_u32_e32 vcc_lo, 0, v133
	v_add_nc_u32_e32 v133, 0xffffff89, v133
	v_cndmask_b32_e64 v135, v135, 0x77, vcc_lo
	s_delay_alu instid0(VALU_DEP_4) | instskip(NEXT) | instid1(VALU_DEP_3)
	v_cndmask_b32_e32 v134, v144, v134, vcc_lo
	v_cndmask_b32_e64 v133, v133, 0xffffff8a, vcc_lo
	s_delay_alu instid0(VALU_DEP_3) | instskip(NEXT) | instid1(VALU_DEP_3)
	v_lshl_add_u32 v144, 0x100000, v135, -1
	v_lshrrev_b32_e32 v145, v135, v134
	v_lshlrev_b32_e64 v147, v135, 0x80000
	s_delay_alu instid0(VALU_DEP_4) | instskip(NEXT) | instid1(VALU_DEP_4)
	v_add_nc_u32_e32 v135, v135, v133
	v_and_b32_e32 v134, v144, v134
	s_delay_alu instid0(VALU_DEP_4) | instskip(NEXT) | instid1(VALU_DEP_2)
	v_bfe_u32 v146, v145, 20, 1
	v_cmp_eq_u32_e64 s7, v134, v147
	s_delay_alu instid0(VALU_DEP_2) | instskip(NEXT) | instid1(VALU_DEP_1)
	v_add_nc_u32_e32 v144, -1, v146
	v_cndmask_b32_e64 v134, 0, v144, s7
	v_lshrrev_b32_e32 v144, 23, v145
	s_mov_b32 s7, exec_lo
	s_delay_alu instid0(VALU_DEP_2) | instskip(NEXT) | instid1(VALU_DEP_2)
	v_add_nc_u32_e32 v134, v134, v145
	v_xor_b32_e32 v144, 1, v144
	s_delay_alu instid0(VALU_DEP_2) | instskip(NEXT) | instid1(VALU_DEP_1)
	v_and_b32_e32 v133, 0xfffff, v134
	v_add_nc_u32_e32 v134, v133, v145
                                        ; implicit-def: $vgpr133
	s_delay_alu instid0(VALU_DEP_3)
	v_cmpx_ne_u32_e64 v135, v144
	s_xor_b32 s7, exec_lo, s7
; %bb.719:                              ;   in Loop: Header=BB4_634 Depth=2
	s_delay_alu instid0(VALU_DEP_2) | instskip(SKIP_2) | instid1(VALU_DEP_2)
	v_cmp_lt_u32_e32 vcc_lo, 0xffffff, v134
	v_sub_nc_u32_e32 v133, v135, v144
	v_cndmask_b32_e64 v135, 0, 1, vcc_lo
	v_add_co_ci_u32_e32 v133, vcc_lo, 0, v133, vcc_lo
	s_delay_alu instid0(VALU_DEP_2)
	v_lshrrev_b32_e32 v134, v135, v134
; %bb.720:                              ;   in Loop: Header=BB4_634 Depth=2
	s_and_not1_saveexec_b32 s7, s7
; %bb.721:                              ;   in Loop: Header=BB4_634 Depth=2
	s_delay_alu instid0(VALU_DEP_1)
	v_bfe_u32 v133, v134, 23, 1
; %bb.722:                              ;   in Loop: Header=BB4_634 Depth=2
	s_or_b32 exec_lo, exec_lo, s7
	v_lshrrev_b32_e32 v134, 20, v134
	s_delay_alu instid0(VALU_DEP_2) | instskip(SKIP_2) | instid1(VALU_DEP_3)
	v_min_i32_e32 v135, 15, v133
	v_cmp_gt_i32_e32 vcc_lo, 16, v133
	v_lshrrev_b32_e32 v18, 24, v18
	v_dual_cndmask_b32 v134, 7, v134 :: v_dual_lshlrev_b32 v135, 3, v135
	s_delay_alu instid0(VALU_DEP_2) | instskip(NEXT) | instid1(VALU_DEP_2)
	v_and_b32_e32 v18, 0x80, v18
	v_and_b32_e32 v135, 0xf8, v135
	s_delay_alu instid0(VALU_DEP_3) | instskip(SKIP_1) | instid1(VALU_DEP_2)
	v_and_b32_e32 v144, 7, v134
	v_or_b32_e32 v133, v133, v134
	v_or3_b32 v18, v18, v135, v144
	s_delay_alu instid0(VALU_DEP_2) | instskip(NEXT) | instid1(VALU_DEP_2)
	v_cmp_ne_u32_e32 vcc_lo, 0, v133
	v_lshlrev_b32_e32 v18, 8, v18
	s_delay_alu instid0(VALU_DEP_1)
	v_cndmask_b32_e32 v133, 0, v18, vcc_lo
.LBB4_723:                              ;   in Loop: Header=BB4_634 Depth=2
	s_or_b32 exec_lo, exec_lo, s18
.LBB4_724:                              ;   in Loop: Header=BB4_634 Depth=2
	s_delay_alu instid0(SALU_CYCLE_1) | instskip(SKIP_3) | instid1(VALU_DEP_1)
	s_or_b32 exec_lo, exec_lo, s8
	v_lshrrev_b32_e32 v18, 16, v87
	s_mov_b32 s7, 0
	s_mov_b32 s18, exec_lo
                                        ; implicit-def: $sgpr8
	v_and_b32_e32 v135, 0xff, v18
	s_delay_alu instid0(VALU_DEP_1)
	v_cmpx_lt_i16_e64 0x7f, v135
	s_xor_b32 s18, exec_lo, s18
	s_cbranch_execnz .LBB4_918
; %bb.725:                              ;   in Loop: Header=BB4_634 Depth=2
	s_or_saveexec_b32 s18, s18
	v_mov_b32_e32 v134, s8
	s_xor_b32 exec_lo, exec_lo, s18
	s_cbranch_execnz .LBB4_921
.LBB4_726:                              ;   in Loop: Header=BB4_634 Depth=2
	s_or_b32 exec_lo, exec_lo, s18
	s_and_saveexec_b32 s8, s7
	s_cbranch_execz .LBB4_728
.LBB4_727:                              ;   in Loop: Header=BB4_634 Depth=2
	v_bfe_u32 v134, v87, 16, 3
	s_delay_alu instid0(VALU_DEP_1) | instskip(NEXT) | instid1(VALU_DEP_1)
	v_clz_i32_u32_e32 v135, v134
	v_min_u32_e32 v135, 32, v135
	s_delay_alu instid0(VALU_DEP_1) | instskip(SKIP_1) | instid1(VALU_DEP_2)
	v_subrev_nc_u32_e32 v144, 28, v135
	v_sub_nc_u32_e32 v135, 29, v135
	v_lshlrev_b32_e32 v18, v144, v18
	v_bfe_u32 v144, v87, 19, 4
	s_delay_alu instid0(VALU_DEP_1) | instskip(NEXT) | instid1(VALU_DEP_3)
	v_cmp_eq_u32_e32 vcc_lo, 0, v144
	v_dual_cndmask_b32 v135, v144, v135 :: v_dual_and_b32 v18, 7, v18
	s_delay_alu instid0(VALU_DEP_1) | instskip(NEXT) | instid1(VALU_DEP_2)
	v_dual_cndmask_b32 v18, v134, v18 :: v_dual_lshlrev_b32 v145, 8, v87
	v_lshl_add_u32 v135, v135, 23, 0x3b800000
	s_delay_alu instid0(VALU_DEP_2) | instskip(NEXT) | instid1(VALU_DEP_3)
	v_and_b32_e32 v134, 0x80000000, v145
	v_lshlrev_b32_e32 v18, 20, v18
	s_delay_alu instid0(VALU_DEP_1)
	v_or3_b32 v134, v134, v135, v18
.LBB4_728:                              ;   in Loop: Header=BB4_634 Depth=2
	s_or_b32 exec_lo, exec_lo, s8
	s_delay_alu instid0(VALU_DEP_1) | instskip(NEXT) | instid1(VALU_DEP_1)
	v_mul_f32_e32 v134, v0, v134
	v_and_b32_e32 v18, 0x7f800000, v134
	s_delay_alu instid0(VALU_DEP_1)
	v_cmp_ne_u32_e32 vcc_lo, 0x7f800000, v18
	v_mov_b32_e32 v18, 0x80
	s_and_saveexec_b32 s8, vcc_lo
	s_cbranch_execz .LBB4_736
; %bb.729:                              ;   in Loop: Header=BB4_634 Depth=2
	v_mov_b32_e32 v18, 0
	s_mov_b32 s18, exec_lo
	v_cmpx_ne_u32_e32 0, v134
	s_cbranch_execz .LBB4_735
; %bb.730:                              ;   in Loop: Header=BB4_634 Depth=2
	v_bfe_u32 v18, v134, 23, 8
	s_delay_alu instid0(VALU_DEP_1) | instskip(SKIP_1) | instid1(VALU_DEP_2)
	v_sub_nc_u32_e32 v144, 0x78, v18
	v_cmp_gt_u32_e32 vcc_lo, 0x79, v18
	v_dual_cndmask_b32 v144, 0, v144 :: v_dual_and_b32 v135, 0x7fffff, v134
	s_delay_alu instid0(VALU_DEP_1) | instskip(SKIP_2) | instid1(VALU_DEP_4)
	v_or_b32_e32 v145, 0x800000, v135
	v_cmp_eq_u32_e32 vcc_lo, 0, v18
	v_add_nc_u32_e32 v18, 0xffffff89, v18
	v_cndmask_b32_e64 v144, v144, 0x77, vcc_lo
	s_delay_alu instid0(VALU_DEP_4) | instskip(NEXT) | instid1(VALU_DEP_3)
	v_cndmask_b32_e32 v135, v145, v135, vcc_lo
	v_cndmask_b32_e64 v18, v18, 0xffffff8a, vcc_lo
	s_delay_alu instid0(VALU_DEP_3) | instskip(NEXT) | instid1(VALU_DEP_3)
	v_lshl_add_u32 v145, 0x100000, v144, -1
	v_lshrrev_b32_e32 v146, v144, v135
	v_lshlrev_b32_e64 v148, v144, 0x80000
	s_delay_alu instid0(VALU_DEP_4) | instskip(NEXT) | instid1(VALU_DEP_4)
	v_add_nc_u32_e32 v144, v144, v18
	v_and_b32_e32 v135, v145, v135
	s_delay_alu instid0(VALU_DEP_4) | instskip(NEXT) | instid1(VALU_DEP_2)
	v_bfe_u32 v147, v146, 20, 1
	v_cmp_eq_u32_e64 s7, v135, v148
	s_delay_alu instid0(VALU_DEP_2) | instskip(NEXT) | instid1(VALU_DEP_1)
	v_add_nc_u32_e32 v145, -1, v147
	v_cndmask_b32_e64 v135, 0, v145, s7
	v_lshrrev_b32_e32 v145, 23, v146
	s_mov_b32 s7, exec_lo
	s_delay_alu instid0(VALU_DEP_2) | instskip(NEXT) | instid1(VALU_DEP_2)
	v_add_nc_u32_e32 v135, v135, v146
	v_xor_b32_e32 v145, 1, v145
	s_delay_alu instid0(VALU_DEP_2) | instskip(NEXT) | instid1(VALU_DEP_1)
	v_and_b32_e32 v18, 0xfffff, v135
	v_add_nc_u32_e32 v135, v18, v146
                                        ; implicit-def: $vgpr18
	s_delay_alu instid0(VALU_DEP_3)
	v_cmpx_ne_u32_e64 v144, v145
	s_xor_b32 s7, exec_lo, s7
; %bb.731:                              ;   in Loop: Header=BB4_634 Depth=2
	s_delay_alu instid0(VALU_DEP_2) | instskip(SKIP_2) | instid1(VALU_DEP_2)
	v_cmp_lt_u32_e32 vcc_lo, 0xffffff, v135
	v_sub_nc_u32_e32 v18, v144, v145
	v_cndmask_b32_e64 v144, 0, 1, vcc_lo
	v_add_co_ci_u32_e32 v18, vcc_lo, 0, v18, vcc_lo
	s_delay_alu instid0(VALU_DEP_2)
	v_lshrrev_b32_e32 v135, v144, v135
; %bb.732:                              ;   in Loop: Header=BB4_634 Depth=2
	s_and_not1_saveexec_b32 s7, s7
; %bb.733:                              ;   in Loop: Header=BB4_634 Depth=2
	s_delay_alu instid0(VALU_DEP_1)
	v_bfe_u32 v18, v135, 23, 1
; %bb.734:                              ;   in Loop: Header=BB4_634 Depth=2
	s_or_b32 exec_lo, exec_lo, s7
	v_lshrrev_b32_e32 v135, 20, v135
	s_delay_alu instid0(VALU_DEP_2) | instskip(SKIP_2) | instid1(VALU_DEP_2)
	v_cmp_gt_i32_e32 vcc_lo, 16, v18
	v_min_i32_e32 v144, 15, v18
	v_lshrrev_b32_e32 v134, 24, v134
	v_dual_cndmask_b32 v135, 7, v135 :: v_dual_lshlrev_b32 v144, 3, v144
	s_delay_alu instid0(VALU_DEP_2) | instskip(NEXT) | instid1(VALU_DEP_2)
	v_and_b32_e32 v134, 0x80, v134
	v_or_b32_e32 v18, v18, v135
	s_delay_alu instid0(VALU_DEP_3) | instskip(NEXT) | instid1(VALU_DEP_2)
	v_and_b32_e32 v144, 0xf8, v144
	v_cmp_ne_u32_e32 vcc_lo, 0, v18
	v_and_b32_e32 v145, 7, v135
	s_delay_alu instid0(VALU_DEP_1) | instskip(NEXT) | instid1(VALU_DEP_1)
	v_or3_b32 v134, v144, v134, v145
	v_cndmask_b32_e32 v18, 0, v134, vcc_lo
.LBB4_735:                              ;   in Loop: Header=BB4_634 Depth=2
	s_or_b32 exec_lo, exec_lo, s18
.LBB4_736:                              ;   in Loop: Header=BB4_634 Depth=2
	s_delay_alu instid0(SALU_CYCLE_1) | instskip(SKIP_3) | instid1(VALU_DEP_1)
	s_or_b32 exec_lo, exec_lo, s8
	v_lshrrev_b32_e32 v134, 24, v87
	s_mov_b32 s7, 0
	s_mov_b32 s18, exec_lo
                                        ; implicit-def: $sgpr8
	v_cmpx_lt_i16_e64 0x7f, v134
	s_xor_b32 s18, exec_lo, s18
	s_cbranch_execnz .LBB4_922
; %bb.737:                              ;   in Loop: Header=BB4_634 Depth=2
	s_or_saveexec_b32 s18, s18
	v_mov_b32_e32 v135, s8
	s_xor_b32 exec_lo, exec_lo, s18
	s_cbranch_execnz .LBB4_925
.LBB4_738:                              ;   in Loop: Header=BB4_634 Depth=2
	s_or_b32 exec_lo, exec_lo, s18
	s_and_saveexec_b32 s8, s7
	s_cbranch_execz .LBB4_740
.LBB4_739:                              ;   in Loop: Header=BB4_634 Depth=2
	v_bfe_u32 v135, v87, 24, 3
	s_delay_alu instid0(VALU_DEP_1) | instskip(NEXT) | instid1(VALU_DEP_1)
	v_clz_i32_u32_e32 v144, v135
	v_min_u32_e32 v144, 32, v144
	s_delay_alu instid0(VALU_DEP_1) | instskip(SKIP_1) | instid1(VALU_DEP_2)
	v_subrev_nc_u32_e32 v145, 28, v144
	v_sub_nc_u32_e32 v144, 29, v144
	v_lshlrev_b32_e32 v134, v145, v134
	v_bfe_u32 v145, v87, 27, 4
	v_and_b32_e32 v87, 0x80000000, v87
	s_delay_alu instid0(VALU_DEP_3) | instskip(NEXT) | instid1(VALU_DEP_3)
	v_and_b32_e32 v134, 7, v134
	v_cmp_eq_u32_e32 vcc_lo, 0, v145
	v_cndmask_b32_e32 v144, v145, v144, vcc_lo
	s_delay_alu instid0(VALU_DEP_3) | instskip(NEXT) | instid1(VALU_DEP_2)
	v_cndmask_b32_e32 v134, v135, v134, vcc_lo
	v_lshl_add_u32 v135, v144, 23, 0x3b800000
	s_delay_alu instid0(VALU_DEP_2) | instskip(NEXT) | instid1(VALU_DEP_1)
	v_lshlrev_b32_e32 v134, 20, v134
	v_or3_b32 v135, v87, v135, v134
.LBB4_740:                              ;   in Loop: Header=BB4_634 Depth=2
	s_or_b32 exec_lo, exec_lo, s8
	s_delay_alu instid0(VALU_DEP_1) | instskip(NEXT) | instid1(VALU_DEP_1)
	v_mul_f32_e32 v134, v0, v135
	v_and_b32_e32 v87, 0x7f800000, v134
	s_delay_alu instid0(VALU_DEP_1)
	v_cmp_ne_u32_e32 vcc_lo, 0x7f800000, v87
	v_mov_b32_e32 v87, 0x8000
	s_and_saveexec_b32 s8, vcc_lo
	s_cbranch_execz .LBB4_748
; %bb.741:                              ;   in Loop: Header=BB4_634 Depth=2
	v_mov_b32_e32 v87, 0
	s_mov_b32 s18, exec_lo
	v_cmpx_ne_u32_e32 0, v134
	s_cbranch_execz .LBB4_747
; %bb.742:                              ;   in Loop: Header=BB4_634 Depth=2
	v_bfe_u32 v87, v134, 23, 8
	s_delay_alu instid0(VALU_DEP_1) | instskip(SKIP_1) | instid1(VALU_DEP_2)
	v_sub_nc_u32_e32 v144, 0x78, v87
	v_cmp_gt_u32_e32 vcc_lo, 0x79, v87
	v_dual_cndmask_b32 v144, 0, v144 :: v_dual_and_b32 v135, 0x7fffff, v134
	s_delay_alu instid0(VALU_DEP_1) | instskip(SKIP_2) | instid1(VALU_DEP_4)
	v_or_b32_e32 v145, 0x800000, v135
	v_cmp_eq_u32_e32 vcc_lo, 0, v87
	v_add_nc_u32_e32 v87, 0xffffff89, v87
	v_cndmask_b32_e64 v144, v144, 0x77, vcc_lo
	s_delay_alu instid0(VALU_DEP_4) | instskip(NEXT) | instid1(VALU_DEP_3)
	v_cndmask_b32_e32 v135, v145, v135, vcc_lo
	v_cndmask_b32_e64 v87, v87, 0xffffff8a, vcc_lo
	s_delay_alu instid0(VALU_DEP_3) | instskip(NEXT) | instid1(VALU_DEP_3)
	v_lshl_add_u32 v145, 0x100000, v144, -1
	v_lshrrev_b32_e32 v146, v144, v135
	v_lshlrev_b32_e64 v148, v144, 0x80000
	s_delay_alu instid0(VALU_DEP_4) | instskip(NEXT) | instid1(VALU_DEP_4)
	v_add_nc_u32_e32 v144, v144, v87
	v_and_b32_e32 v135, v145, v135
	s_delay_alu instid0(VALU_DEP_4) | instskip(NEXT) | instid1(VALU_DEP_2)
	v_bfe_u32 v147, v146, 20, 1
	v_cmp_eq_u32_e64 s7, v135, v148
	s_delay_alu instid0(VALU_DEP_2) | instskip(NEXT) | instid1(VALU_DEP_1)
	v_add_nc_u32_e32 v145, -1, v147
	v_cndmask_b32_e64 v135, 0, v145, s7
	v_lshrrev_b32_e32 v145, 23, v146
	s_mov_b32 s7, exec_lo
	s_delay_alu instid0(VALU_DEP_2) | instskip(NEXT) | instid1(VALU_DEP_2)
	v_add_nc_u32_e32 v135, v135, v146
	v_xor_b32_e32 v145, 1, v145
	s_delay_alu instid0(VALU_DEP_2) | instskip(NEXT) | instid1(VALU_DEP_1)
	v_and_b32_e32 v87, 0xfffff, v135
	v_add_nc_u32_e32 v135, v87, v146
                                        ; implicit-def: $vgpr87
	s_delay_alu instid0(VALU_DEP_3)
	v_cmpx_ne_u32_e64 v144, v145
	s_xor_b32 s7, exec_lo, s7
; %bb.743:                              ;   in Loop: Header=BB4_634 Depth=2
	s_delay_alu instid0(VALU_DEP_2) | instskip(SKIP_2) | instid1(VALU_DEP_2)
	v_cmp_lt_u32_e32 vcc_lo, 0xffffff, v135
	v_sub_nc_u32_e32 v87, v144, v145
	v_cndmask_b32_e64 v144, 0, 1, vcc_lo
	v_add_co_ci_u32_e32 v87, vcc_lo, 0, v87, vcc_lo
	s_delay_alu instid0(VALU_DEP_2)
	v_lshrrev_b32_e32 v135, v144, v135
; %bb.744:                              ;   in Loop: Header=BB4_634 Depth=2
	s_and_not1_saveexec_b32 s7, s7
; %bb.745:                              ;   in Loop: Header=BB4_634 Depth=2
	s_delay_alu instid0(VALU_DEP_1)
	v_bfe_u32 v87, v135, 23, 1
; %bb.746:                              ;   in Loop: Header=BB4_634 Depth=2
	s_or_b32 exec_lo, exec_lo, s7
	v_lshrrev_b32_e32 v135, 20, v135
	s_delay_alu instid0(VALU_DEP_2) | instskip(SKIP_2) | instid1(VALU_DEP_2)
	v_cmp_gt_i32_e32 vcc_lo, 16, v87
	v_min_i32_e32 v144, 15, v87
	v_lshrrev_b32_e32 v134, 24, v134
	v_dual_cndmask_b32 v135, 7, v135 :: v_dual_lshlrev_b32 v144, 3, v144
	s_delay_alu instid0(VALU_DEP_2) | instskip(NEXT) | instid1(VALU_DEP_2)
	v_and_b32_e32 v134, 0x80, v134
	v_or_b32_e32 v87, v87, v135
	v_and_b32_e32 v145, 7, v135
	s_delay_alu instid0(VALU_DEP_2) | instskip(SKIP_1) | instid1(VALU_DEP_1)
	v_cmp_ne_u32_e32 vcc_lo, 0, v87
	v_and_b32_e32 v144, 0xf8, v144
	v_or3_b32 v134, v134, v144, v145
	s_delay_alu instid0(VALU_DEP_1) | instskip(NEXT) | instid1(VALU_DEP_1)
	v_lshlrev_b32_e32 v134, 8, v134
	v_cndmask_b32_e32 v87, 0, v134, vcc_lo
.LBB4_747:                              ;   in Loop: Header=BB4_634 Depth=2
	s_or_b32 exec_lo, exec_lo, s18
.LBB4_748:                              ;   in Loop: Header=BB4_634 Depth=2
	s_delay_alu instid0(SALU_CYCLE_1) | instskip(SKIP_3) | instid1(VALU_DEP_1)
	s_or_b32 exec_lo, exec_lo, s8
	v_and_b32_e32 v135, 0xff, v17
	s_mov_b32 s7, 0
	s_mov_b32 s18, exec_lo
                                        ; implicit-def: $sgpr8
	v_cmpx_lt_i16_e64 0x7f, v135
	s_xor_b32 s18, exec_lo, s18
	s_cbranch_execnz .LBB4_926
; %bb.749:                              ;   in Loop: Header=BB4_634 Depth=2
	s_or_saveexec_b32 s18, s18
	v_mov_b32_e32 v134, s8
	s_xor_b32 exec_lo, exec_lo, s18
	s_cbranch_execnz .LBB4_929
.LBB4_750:                              ;   in Loop: Header=BB4_634 Depth=2
	s_or_b32 exec_lo, exec_lo, s18
	s_and_saveexec_b32 s8, s7
	s_cbranch_execz .LBB4_752
.LBB4_751:                              ;   in Loop: Header=BB4_634 Depth=2
	v_bfe_u32 v145, v17, 3, 4
	v_lshlrev_b32_e32 v146, 24, v17
	s_delay_alu instid0(VALU_DEP_2) | instskip(SKIP_1) | instid1(VALU_DEP_1)
	v_cmp_eq_u32_e32 vcc_lo, 0, v145
	v_and_b32_e32 v134, 7, v17
	v_clz_i32_u32_e32 v135, v134
	s_delay_alu instid0(VALU_DEP_1) | instskip(NEXT) | instid1(VALU_DEP_1)
	v_min_u32_e32 v135, 32, v135
	v_subrev_nc_u32_e32 v144, 28, v135
	v_sub_nc_u32_e32 v135, 29, v135
	s_delay_alu instid0(VALU_DEP_1) | instskip(NEXT) | instid1(VALU_DEP_1)
	v_dual_cndmask_b32 v135, v145, v135 :: v_dual_lshlrev_b32 v144, v144, v17
	v_and_b32_e32 v144, 7, v144
	s_delay_alu instid0(VALU_DEP_2) | instskip(NEXT) | instid1(VALU_DEP_2)
	v_lshl_add_u32 v135, v135, 23, 0x3b800000
	v_cndmask_b32_e32 v134, v134, v144, vcc_lo
	v_and_b32_e32 v144, 0x80000000, v146
	s_delay_alu instid0(VALU_DEP_2) | instskip(NEXT) | instid1(VALU_DEP_1)
	v_lshlrev_b32_e32 v134, 20, v134
	v_or3_b32 v134, v144, v135, v134
.LBB4_752:                              ;   in Loop: Header=BB4_634 Depth=2
	s_or_b32 exec_lo, exec_lo, s8
	v_and_b32_e32 v144, 0xff, v20
	s_mov_b32 s7, 0
	s_mov_b32 s18, exec_lo
                                        ; implicit-def: $sgpr8
	s_delay_alu instid0(VALU_DEP_1)
	v_cmpx_lt_i16_e64 0x7f, v144
	s_xor_b32 s18, exec_lo, s18
	s_cbranch_execnz .LBB4_930
; %bb.753:                              ;   in Loop: Header=BB4_634 Depth=2
	s_or_saveexec_b32 s18, s18
	v_mov_b32_e32 v135, s8
	s_xor_b32 exec_lo, exec_lo, s18
	s_cbranch_execnz .LBB4_933
.LBB4_754:                              ;   in Loop: Header=BB4_634 Depth=2
	s_or_b32 exec_lo, exec_lo, s18
	s_and_saveexec_b32 s8, s7
	s_cbranch_execz .LBB4_756
.LBB4_755:                              ;   in Loop: Header=BB4_634 Depth=2
	v_and_b32_e32 v135, 7, v20
	v_bfe_u32 v146, v20, 3, 4
	s_delay_alu instid0(VALU_DEP_2) | instskip(NEXT) | instid1(VALU_DEP_2)
	v_clz_i32_u32_e32 v144, v135
	v_cmp_eq_u32_e32 vcc_lo, 0, v146
	s_delay_alu instid0(VALU_DEP_2) | instskip(NEXT) | instid1(VALU_DEP_1)
	v_min_u32_e32 v144, 32, v144
	v_subrev_nc_u32_e32 v145, 28, v144
	v_sub_nc_u32_e32 v144, 29, v144
	s_delay_alu instid0(VALU_DEP_2) | instskip(NEXT) | instid1(VALU_DEP_1)
	v_lshlrev_b32_e32 v145, v145, v20
	v_dual_cndmask_b32 v144, v146, v144 :: v_dual_and_b32 v145, 7, v145
	v_lshlrev_b32_e32 v20, 24, v20
	s_delay_alu instid0(VALU_DEP_2) | instskip(NEXT) | instid1(VALU_DEP_2)
	v_lshl_add_u32 v144, v144, 23, 0x3b800000
	v_dual_cndmask_b32 v135, v135, v145 :: v_dual_and_b32 v20, 0x80000000, v20
	s_delay_alu instid0(VALU_DEP_1) | instskip(NEXT) | instid1(VALU_DEP_1)
	v_lshlrev_b32_e32 v135, 20, v135
	v_or3_b32 v135, v20, v144, v135
.LBB4_756:                              ;   in Loop: Header=BB4_634 Depth=2
	s_or_b32 exec_lo, exec_lo, s8
	s_delay_alu instid0(VALU_DEP_1) | instskip(NEXT) | instid1(VALU_DEP_1)
	v_add_f32_e32 v134, v134, v135
	v_and_b32_e32 v20, 0x7f800000, v134
	s_delay_alu instid0(VALU_DEP_1)
	v_cmp_ne_u32_e32 vcc_lo, 0x7f800000, v20
	v_mov_b32_e32 v20, 0x80
	s_and_saveexec_b32 s8, vcc_lo
	s_cbranch_execz .LBB4_764
; %bb.757:                              ;   in Loop: Header=BB4_634 Depth=2
	v_mov_b32_e32 v20, 0
	s_mov_b32 s18, exec_lo
	v_cmpx_ne_u32_e32 0, v134
	s_cbranch_execz .LBB4_763
; %bb.758:                              ;   in Loop: Header=BB4_634 Depth=2
	v_bfe_u32 v20, v134, 23, 8
	s_delay_alu instid0(VALU_DEP_1) | instskip(SKIP_1) | instid1(VALU_DEP_2)
	v_sub_nc_u32_e32 v144, 0x78, v20
	v_cmp_gt_u32_e32 vcc_lo, 0x79, v20
	v_dual_cndmask_b32 v144, 0, v144 :: v_dual_and_b32 v135, 0x7fffff, v134
	s_delay_alu instid0(VALU_DEP_1) | instskip(SKIP_2) | instid1(VALU_DEP_4)
	v_or_b32_e32 v145, 0x800000, v135
	v_cmp_eq_u32_e32 vcc_lo, 0, v20
	v_add_nc_u32_e32 v20, 0xffffff89, v20
	v_cndmask_b32_e64 v144, v144, 0x77, vcc_lo
	s_delay_alu instid0(VALU_DEP_4) | instskip(NEXT) | instid1(VALU_DEP_3)
	v_cndmask_b32_e32 v135, v145, v135, vcc_lo
	v_cndmask_b32_e64 v20, v20, 0xffffff8a, vcc_lo
	s_delay_alu instid0(VALU_DEP_3) | instskip(NEXT) | instid1(VALU_DEP_3)
	v_lshl_add_u32 v145, 0x100000, v144, -1
	v_lshrrev_b32_e32 v146, v144, v135
	v_lshlrev_b32_e64 v148, v144, 0x80000
	s_delay_alu instid0(VALU_DEP_4) | instskip(NEXT) | instid1(VALU_DEP_4)
	v_add_nc_u32_e32 v144, v144, v20
	v_and_b32_e32 v135, v145, v135
	s_delay_alu instid0(VALU_DEP_4) | instskip(NEXT) | instid1(VALU_DEP_2)
	v_bfe_u32 v147, v146, 20, 1
	v_cmp_eq_u32_e64 s7, v135, v148
	s_delay_alu instid0(VALU_DEP_2) | instskip(NEXT) | instid1(VALU_DEP_1)
	v_add_nc_u32_e32 v145, -1, v147
	v_cndmask_b32_e64 v135, 0, v145, s7
	v_lshrrev_b32_e32 v145, 23, v146
	s_mov_b32 s7, exec_lo
	s_delay_alu instid0(VALU_DEP_2) | instskip(NEXT) | instid1(VALU_DEP_2)
	v_add_nc_u32_e32 v135, v135, v146
	v_xor_b32_e32 v145, 1, v145
	s_delay_alu instid0(VALU_DEP_2) | instskip(NEXT) | instid1(VALU_DEP_1)
	v_and_b32_e32 v20, 0xfffff, v135
	v_add_nc_u32_e32 v135, v20, v146
                                        ; implicit-def: $vgpr20
	s_delay_alu instid0(VALU_DEP_3)
	v_cmpx_ne_u32_e64 v144, v145
	s_xor_b32 s7, exec_lo, s7
; %bb.759:                              ;   in Loop: Header=BB4_634 Depth=2
	s_delay_alu instid0(VALU_DEP_2) | instskip(SKIP_2) | instid1(VALU_DEP_2)
	v_cmp_lt_u32_e32 vcc_lo, 0xffffff, v135
	v_sub_nc_u32_e32 v20, v144, v145
	v_cndmask_b32_e64 v144, 0, 1, vcc_lo
	v_add_co_ci_u32_e32 v20, vcc_lo, 0, v20, vcc_lo
	s_delay_alu instid0(VALU_DEP_2)
	v_lshrrev_b32_e32 v135, v144, v135
; %bb.760:                              ;   in Loop: Header=BB4_634 Depth=2
	s_and_not1_saveexec_b32 s7, s7
; %bb.761:                              ;   in Loop: Header=BB4_634 Depth=2
	s_delay_alu instid0(VALU_DEP_1)
	v_bfe_u32 v20, v135, 23, 1
; %bb.762:                              ;   in Loop: Header=BB4_634 Depth=2
	s_or_b32 exec_lo, exec_lo, s7
	v_lshrrev_b32_e32 v135, 20, v135
	s_delay_alu instid0(VALU_DEP_2) | instskip(SKIP_2) | instid1(VALU_DEP_2)
	v_cmp_gt_i32_e32 vcc_lo, 16, v20
	v_lshrrev_b32_e32 v134, 24, v134
	v_min_i32_e32 v144, 15, v20
	v_dual_cndmask_b32 v135, 7, v135 :: v_dual_and_b32 v134, 0x80, v134
	s_delay_alu instid0(VALU_DEP_2) | instskip(NEXT) | instid1(VALU_DEP_2)
	v_lshlrev_b32_e32 v144, 3, v144
	v_or_b32_e32 v20, v20, v135
	s_delay_alu instid0(VALU_DEP_1) | instskip(SKIP_1) | instid1(VALU_DEP_1)
	v_cmp_ne_u32_e32 vcc_lo, 0, v20
	v_and_b32_e32 v145, 7, v135
	v_or3_b32 v134, v144, v134, v145
	s_delay_alu instid0(VALU_DEP_1)
	v_cndmask_b32_e32 v20, 0, v134, vcc_lo
.LBB4_763:                              ;   in Loop: Header=BB4_634 Depth=2
	s_or_b32 exec_lo, exec_lo, s18
.LBB4_764:                              ;   in Loop: Header=BB4_634 Depth=2
	s_delay_alu instid0(SALU_CYCLE_1) | instskip(SKIP_3) | instid1(VALU_DEP_1)
	s_or_b32 exec_lo, exec_lo, s8
	v_lshrrev_b16 v135, 8, v17
	s_mov_b32 s7, 0
	s_mov_b32 s18, exec_lo
                                        ; implicit-def: $sgpr8
	v_cmpx_lt_i16_e64 0x7f, v135
	s_xor_b32 s18, exec_lo, s18
	s_cbranch_execnz .LBB4_934
; %bb.765:                              ;   in Loop: Header=BB4_634 Depth=2
	s_or_saveexec_b32 s18, s18
	v_mov_b32_e32 v134, s8
	s_xor_b32 exec_lo, exec_lo, s18
	s_cbranch_execnz .LBB4_937
.LBB4_766:                              ;   in Loop: Header=BB4_634 Depth=2
	s_or_b32 exec_lo, exec_lo, s18
	s_and_saveexec_b32 s8, s7
	s_cbranch_execz .LBB4_768
.LBB4_767:                              ;   in Loop: Header=BB4_634 Depth=2
	v_and_b32_e32 v134, 0xffff, v135
	s_delay_alu instid0(VALU_DEP_1) | instskip(NEXT) | instid1(VALU_DEP_1)
	v_and_b32_e32 v144, 7, v134
	v_clz_i32_u32_e32 v145, v144
	s_delay_alu instid0(VALU_DEP_1) | instskip(NEXT) | instid1(VALU_DEP_1)
	v_min_u32_e32 v145, 32, v145
	v_subrev_nc_u32_e32 v146, 28, v145
	v_sub_nc_u32_e32 v145, 29, v145
	s_delay_alu instid0(VALU_DEP_2) | instskip(SKIP_1) | instid1(VALU_DEP_2)
	v_lshlrev_b32_e32 v146, v146, v134
	v_bfe_u32 v134, v134, 3, 4
	v_and_b32_e32 v146, 7, v146
	s_delay_alu instid0(VALU_DEP_2) | instskip(SKIP_1) | instid1(VALU_DEP_1)
	v_cmp_eq_u32_e32 vcc_lo, 0, v134
	v_dual_cndmask_b32 v134, v134, v145 :: v_dual_lshlrev_b32 v135, 24, v135
	v_dual_cndmask_b32 v144, v144, v146 :: v_dual_and_b32 v135, 0x80000000, v135
	s_delay_alu instid0(VALU_DEP_2) | instskip(NEXT) | instid1(VALU_DEP_2)
	v_lshl_add_u32 v134, v134, 23, 0x3b800000
	v_lshlrev_b32_e32 v144, 20, v144
	s_delay_alu instid0(VALU_DEP_1)
	v_or3_b32 v134, v135, v134, v144
.LBB4_768:                              ;   in Loop: Header=BB4_634 Depth=2
	s_or_b32 exec_lo, exec_lo, s8
	v_and_b32_e32 v144, 0xff, v82
	s_mov_b32 s7, 0
	s_mov_b32 s18, exec_lo
                                        ; implicit-def: $sgpr8
	s_delay_alu instid0(VALU_DEP_1)
	v_cmpx_lt_i16_e64 0x7f, v144
	s_xor_b32 s18, exec_lo, s18
	s_cbranch_execnz .LBB4_938
; %bb.769:                              ;   in Loop: Header=BB4_634 Depth=2
	s_or_saveexec_b32 s18, s18
	v_mov_b32_e32 v135, s8
	s_xor_b32 exec_lo, exec_lo, s18
	s_cbranch_execnz .LBB4_941
.LBB4_770:                              ;   in Loop: Header=BB4_634 Depth=2
	s_or_b32 exec_lo, exec_lo, s18
	s_and_saveexec_b32 s8, s7
	s_cbranch_execz .LBB4_772
.LBB4_771:                              ;   in Loop: Header=BB4_634 Depth=2
	v_bfe_u32 v146, v82, 3, 4
	s_delay_alu instid0(VALU_DEP_1) | instskip(SKIP_1) | instid1(VALU_DEP_1)
	v_cmp_eq_u32_e32 vcc_lo, 0, v146
	v_and_b32_e32 v135, 7, v82
	v_clz_i32_u32_e32 v144, v135
	s_delay_alu instid0(VALU_DEP_1) | instskip(NEXT) | instid1(VALU_DEP_1)
	v_min_u32_e32 v144, 32, v144
	v_subrev_nc_u32_e32 v145, 28, v144
	v_sub_nc_u32_e32 v144, 29, v144
	s_delay_alu instid0(VALU_DEP_1) | instskip(NEXT) | instid1(VALU_DEP_1)
	v_dual_cndmask_b32 v144, v146, v144 :: v_dual_lshlrev_b32 v145, v145, v82
	v_and_b32_e32 v145, 7, v145
	v_lshlrev_b32_e32 v82, 24, v82
	s_delay_alu instid0(VALU_DEP_3) | instskip(NEXT) | instid1(VALU_DEP_2)
	v_lshl_add_u32 v144, v144, 23, 0x3b800000
	v_dual_cndmask_b32 v135, v135, v145 :: v_dual_and_b32 v82, 0x80000000, v82
	s_delay_alu instid0(VALU_DEP_1) | instskip(NEXT) | instid1(VALU_DEP_1)
	v_lshlrev_b32_e32 v135, 20, v135
	v_or3_b32 v135, v82, v144, v135
.LBB4_772:                              ;   in Loop: Header=BB4_634 Depth=2
	s_or_b32 exec_lo, exec_lo, s8
	s_delay_alu instid0(VALU_DEP_1) | instskip(NEXT) | instid1(VALU_DEP_1)
	v_add_f32_e32 v134, v134, v135
	v_and_b32_e32 v82, 0x7f800000, v134
	s_delay_alu instid0(VALU_DEP_1)
	v_cmp_ne_u32_e32 vcc_lo, 0x7f800000, v82
	v_mov_b32_e32 v82, 0x80
	s_and_saveexec_b32 s8, vcc_lo
	s_cbranch_execz .LBB4_780
; %bb.773:                              ;   in Loop: Header=BB4_634 Depth=2
	v_mov_b32_e32 v82, 0
	s_mov_b32 s18, exec_lo
	v_cmpx_ne_u32_e32 0, v134
	s_cbranch_execz .LBB4_779
; %bb.774:                              ;   in Loop: Header=BB4_634 Depth=2
	v_bfe_u32 v82, v134, 23, 8
	s_delay_alu instid0(VALU_DEP_1) | instskip(SKIP_1) | instid1(VALU_DEP_2)
	v_sub_nc_u32_e32 v144, 0x78, v82
	v_cmp_gt_u32_e32 vcc_lo, 0x79, v82
	v_dual_cndmask_b32 v144, 0, v144 :: v_dual_and_b32 v135, 0x7fffff, v134
	s_delay_alu instid0(VALU_DEP_1) | instskip(SKIP_2) | instid1(VALU_DEP_4)
	v_or_b32_e32 v145, 0x800000, v135
	v_cmp_eq_u32_e32 vcc_lo, 0, v82
	v_add_nc_u32_e32 v82, 0xffffff89, v82
	v_cndmask_b32_e64 v144, v144, 0x77, vcc_lo
	s_delay_alu instid0(VALU_DEP_4) | instskip(NEXT) | instid1(VALU_DEP_3)
	v_cndmask_b32_e32 v135, v145, v135, vcc_lo
	v_cndmask_b32_e64 v82, v82, 0xffffff8a, vcc_lo
	s_delay_alu instid0(VALU_DEP_3) | instskip(NEXT) | instid1(VALU_DEP_3)
	v_lshl_add_u32 v145, 0x100000, v144, -1
	v_lshrrev_b32_e32 v146, v144, v135
	v_lshlrev_b32_e64 v148, v144, 0x80000
	s_delay_alu instid0(VALU_DEP_4) | instskip(NEXT) | instid1(VALU_DEP_4)
	v_add_nc_u32_e32 v144, v144, v82
	v_and_b32_e32 v135, v145, v135
	s_delay_alu instid0(VALU_DEP_4) | instskip(NEXT) | instid1(VALU_DEP_2)
	v_bfe_u32 v147, v146, 20, 1
	v_cmp_eq_u32_e64 s7, v135, v148
	s_delay_alu instid0(VALU_DEP_2) | instskip(NEXT) | instid1(VALU_DEP_1)
	v_add_nc_u32_e32 v145, -1, v147
	v_cndmask_b32_e64 v135, 0, v145, s7
	v_lshrrev_b32_e32 v145, 23, v146
	s_mov_b32 s7, exec_lo
	s_delay_alu instid0(VALU_DEP_2) | instskip(NEXT) | instid1(VALU_DEP_2)
	v_add_nc_u32_e32 v135, v135, v146
	v_xor_b32_e32 v145, 1, v145
	s_delay_alu instid0(VALU_DEP_2) | instskip(NEXT) | instid1(VALU_DEP_1)
	v_and_b32_e32 v82, 0xfffff, v135
	v_add_nc_u32_e32 v135, v82, v146
                                        ; implicit-def: $vgpr82
	s_delay_alu instid0(VALU_DEP_3)
	v_cmpx_ne_u32_e64 v144, v145
	s_xor_b32 s7, exec_lo, s7
; %bb.775:                              ;   in Loop: Header=BB4_634 Depth=2
	s_delay_alu instid0(VALU_DEP_2) | instskip(SKIP_2) | instid1(VALU_DEP_2)
	v_cmp_lt_u32_e32 vcc_lo, 0xffffff, v135
	v_sub_nc_u32_e32 v82, v144, v145
	v_cndmask_b32_e64 v144, 0, 1, vcc_lo
	v_add_co_ci_u32_e32 v82, vcc_lo, 0, v82, vcc_lo
	s_delay_alu instid0(VALU_DEP_2)
	v_lshrrev_b32_e32 v135, v144, v135
; %bb.776:                              ;   in Loop: Header=BB4_634 Depth=2
	s_and_not1_saveexec_b32 s7, s7
; %bb.777:                              ;   in Loop: Header=BB4_634 Depth=2
	s_delay_alu instid0(VALU_DEP_1)
	v_bfe_u32 v82, v135, 23, 1
; %bb.778:                              ;   in Loop: Header=BB4_634 Depth=2
	s_or_b32 exec_lo, exec_lo, s7
	v_lshrrev_b32_e32 v135, 20, v135
	s_delay_alu instid0(VALU_DEP_2) | instskip(SKIP_2) | instid1(VALU_DEP_2)
	v_cmp_gt_i32_e32 vcc_lo, 16, v82
	v_lshrrev_b32_e32 v134, 24, v134
	v_min_i32_e32 v144, 15, v82
	v_dual_cndmask_b32 v135, 7, v135 :: v_dual_and_b32 v134, 0x80, v134
	s_delay_alu instid0(VALU_DEP_2) | instskip(NEXT) | instid1(VALU_DEP_2)
	v_lshlrev_b32_e32 v144, 3, v144
	v_or_b32_e32 v82, v82, v135
	s_delay_alu instid0(VALU_DEP_1) | instskip(SKIP_1) | instid1(VALU_DEP_1)
	v_cmp_ne_u32_e32 vcc_lo, 0, v82
	v_and_b32_e32 v145, 7, v135
	v_or3_b32 v134, v144, v134, v145
	s_delay_alu instid0(VALU_DEP_1)
	v_cndmask_b32_e32 v82, 0, v134, vcc_lo
.LBB4_779:                              ;   in Loop: Header=BB4_634 Depth=2
	s_or_b32 exec_lo, exec_lo, s18
.LBB4_780:                              ;   in Loop: Header=BB4_634 Depth=2
	s_delay_alu instid0(SALU_CYCLE_1) | instskip(SKIP_3) | instid1(VALU_DEP_1)
	s_or_b32 exec_lo, exec_lo, s8
	v_lshrrev_b32_e32 v135, 16, v17
	s_mov_b32 s7, 0
	s_mov_b32 s18, exec_lo
                                        ; implicit-def: $sgpr8
	v_and_b32_e32 v144, 0xff, v135
	s_delay_alu instid0(VALU_DEP_1)
	v_cmpx_lt_i16_e64 0x7f, v144
	s_xor_b32 s18, exec_lo, s18
	s_cbranch_execnz .LBB4_942
; %bb.781:                              ;   in Loop: Header=BB4_634 Depth=2
	s_or_saveexec_b32 s18, s18
	v_mov_b32_e32 v134, s8
	s_xor_b32 exec_lo, exec_lo, s18
	s_cbranch_execnz .LBB4_945
.LBB4_782:                              ;   in Loop: Header=BB4_634 Depth=2
	s_or_b32 exec_lo, exec_lo, s18
	s_and_saveexec_b32 s8, s7
	s_cbranch_execz .LBB4_784
.LBB4_783:                              ;   in Loop: Header=BB4_634 Depth=2
	v_bfe_u32 v134, v17, 16, 3
	v_lshlrev_b32_e32 v146, 8, v17
	s_delay_alu instid0(VALU_DEP_2) | instskip(NEXT) | instid1(VALU_DEP_1)
	v_clz_i32_u32_e32 v144, v134
	v_min_u32_e32 v144, 32, v144
	s_delay_alu instid0(VALU_DEP_1) | instskip(SKIP_1) | instid1(VALU_DEP_2)
	v_subrev_nc_u32_e32 v145, 28, v144
	v_sub_nc_u32_e32 v144, 29, v144
	v_lshlrev_b32_e32 v135, v145, v135
	v_bfe_u32 v145, v17, 19, 4
	s_delay_alu instid0(VALU_DEP_1) | instskip(NEXT) | instid1(VALU_DEP_3)
	v_cmp_eq_u32_e32 vcc_lo, 0, v145
	v_dual_cndmask_b32 v144, v145, v144 :: v_dual_and_b32 v135, 7, v135
	s_delay_alu instid0(VALU_DEP_1) | instskip(NEXT) | instid1(VALU_DEP_2)
	v_dual_cndmask_b32 v134, v134, v135 :: v_dual_and_b32 v135, 0x80000000, v146
	v_lshl_add_u32 v144, v144, 23, 0x3b800000
	s_delay_alu instid0(VALU_DEP_2) | instskip(NEXT) | instid1(VALU_DEP_1)
	v_lshlrev_b32_e32 v134, 20, v134
	v_or3_b32 v134, v135, v144, v134
.LBB4_784:                              ;   in Loop: Header=BB4_634 Depth=2
	s_or_b32 exec_lo, exec_lo, s8
	v_and_b32_e32 v144, 0xff, v97
	s_mov_b32 s7, 0
	s_mov_b32 s18, exec_lo
                                        ; implicit-def: $sgpr8
	s_delay_alu instid0(VALU_DEP_1)
	v_cmpx_lt_i16_e64 0x7f, v144
	s_xor_b32 s18, exec_lo, s18
	s_cbranch_execnz .LBB4_946
; %bb.785:                              ;   in Loop: Header=BB4_634 Depth=2
	s_or_saveexec_b32 s18, s18
	v_mov_b32_e32 v135, s8
	s_xor_b32 exec_lo, exec_lo, s18
	s_cbranch_execnz .LBB4_949
.LBB4_786:                              ;   in Loop: Header=BB4_634 Depth=2
	s_or_b32 exec_lo, exec_lo, s18
	s_and_saveexec_b32 s8, s7
	s_cbranch_execz .LBB4_788
.LBB4_787:                              ;   in Loop: Header=BB4_634 Depth=2
	v_bfe_u32 v146, v97, 3, 4
	s_delay_alu instid0(VALU_DEP_1) | instskip(SKIP_1) | instid1(VALU_DEP_1)
	v_cmp_eq_u32_e32 vcc_lo, 0, v146
	v_and_b32_e32 v135, 7, v97
	v_clz_i32_u32_e32 v144, v135
	s_delay_alu instid0(VALU_DEP_1) | instskip(NEXT) | instid1(VALU_DEP_1)
	v_min_u32_e32 v144, 32, v144
	v_subrev_nc_u32_e32 v145, 28, v144
	v_sub_nc_u32_e32 v144, 29, v144
	s_delay_alu instid0(VALU_DEP_1) | instskip(SKIP_1) | instid1(VALU_DEP_2)
	v_dual_cndmask_b32 v144, v146, v144 :: v_dual_lshlrev_b32 v145, v145, v97
	v_lshlrev_b32_e32 v97, 24, v97
	v_and_b32_e32 v145, 7, v145
	s_delay_alu instid0(VALU_DEP_3) | instskip(NEXT) | instid1(VALU_DEP_3)
	v_lshl_add_u32 v144, v144, 23, 0x3b800000
	v_and_b32_e32 v97, 0x80000000, v97
	s_delay_alu instid0(VALU_DEP_3) | instskip(NEXT) | instid1(VALU_DEP_1)
	v_cndmask_b32_e32 v135, v135, v145, vcc_lo
	v_lshlrev_b32_e32 v135, 20, v135
	s_delay_alu instid0(VALU_DEP_1)
	v_or3_b32 v135, v97, v144, v135
.LBB4_788:                              ;   in Loop: Header=BB4_634 Depth=2
	s_or_b32 exec_lo, exec_lo, s8
	s_delay_alu instid0(VALU_DEP_1) | instskip(NEXT) | instid1(VALU_DEP_1)
	v_add_f32_e32 v134, v134, v135
	v_and_b32_e32 v97, 0x7f800000, v134
	s_delay_alu instid0(VALU_DEP_1)
	v_cmp_ne_u32_e32 vcc_lo, 0x7f800000, v97
	v_mov_b32_e32 v97, 0x80
	s_and_saveexec_b32 s8, vcc_lo
	s_cbranch_execz .LBB4_796
; %bb.789:                              ;   in Loop: Header=BB4_634 Depth=2
	v_mov_b32_e32 v97, 0
	s_mov_b32 s18, exec_lo
	v_cmpx_ne_u32_e32 0, v134
	s_cbranch_execz .LBB4_795
; %bb.790:                              ;   in Loop: Header=BB4_634 Depth=2
	v_bfe_u32 v97, v134, 23, 8
	s_delay_alu instid0(VALU_DEP_1) | instskip(SKIP_1) | instid1(VALU_DEP_2)
	v_sub_nc_u32_e32 v144, 0x78, v97
	v_cmp_gt_u32_e32 vcc_lo, 0x79, v97
	v_dual_cndmask_b32 v144, 0, v144 :: v_dual_and_b32 v135, 0x7fffff, v134
	s_delay_alu instid0(VALU_DEP_1) | instskip(SKIP_2) | instid1(VALU_DEP_4)
	v_or_b32_e32 v145, 0x800000, v135
	v_cmp_eq_u32_e32 vcc_lo, 0, v97
	v_add_nc_u32_e32 v97, 0xffffff89, v97
	v_cndmask_b32_e64 v144, v144, 0x77, vcc_lo
	s_delay_alu instid0(VALU_DEP_2) | instskip(SKIP_1) | instid1(VALU_DEP_3)
	v_cndmask_b32_e64 v97, v97, 0xffffff8a, vcc_lo
	v_cndmask_b32_e32 v135, v145, v135, vcc_lo
	v_lshl_add_u32 v145, 0x100000, v144, -1
	v_lshlrev_b32_e64 v148, v144, 0x80000
	s_delay_alu instid0(VALU_DEP_3) | instskip(SKIP_1) | instid1(VALU_DEP_4)
	v_lshrrev_b32_e32 v146, v144, v135
	v_add_nc_u32_e32 v144, v144, v97
	v_and_b32_e32 v135, v145, v135
	s_delay_alu instid0(VALU_DEP_3) | instskip(NEXT) | instid1(VALU_DEP_2)
	v_bfe_u32 v147, v146, 20, 1
	v_cmp_eq_u32_e64 s7, v135, v148
	s_delay_alu instid0(VALU_DEP_2) | instskip(NEXT) | instid1(VALU_DEP_1)
	v_add_nc_u32_e32 v145, -1, v147
	v_cndmask_b32_e64 v135, 0, v145, s7
	v_lshrrev_b32_e32 v145, 23, v146
	s_mov_b32 s7, exec_lo
	s_delay_alu instid0(VALU_DEP_2) | instskip(NEXT) | instid1(VALU_DEP_2)
	v_add_nc_u32_e32 v135, v135, v146
	v_xor_b32_e32 v145, 1, v145
	s_delay_alu instid0(VALU_DEP_2) | instskip(NEXT) | instid1(VALU_DEP_1)
	v_and_b32_e32 v97, 0xfffff, v135
	v_add_nc_u32_e32 v135, v97, v146
                                        ; implicit-def: $vgpr97
	s_delay_alu instid0(VALU_DEP_3)
	v_cmpx_ne_u32_e64 v144, v145
	s_xor_b32 s7, exec_lo, s7
; %bb.791:                              ;   in Loop: Header=BB4_634 Depth=2
	s_delay_alu instid0(VALU_DEP_2) | instskip(SKIP_2) | instid1(VALU_DEP_2)
	v_cmp_lt_u32_e32 vcc_lo, 0xffffff, v135
	v_sub_nc_u32_e32 v97, v144, v145
	v_cndmask_b32_e64 v144, 0, 1, vcc_lo
	v_add_co_ci_u32_e32 v97, vcc_lo, 0, v97, vcc_lo
	s_delay_alu instid0(VALU_DEP_2)
	v_lshrrev_b32_e32 v135, v144, v135
; %bb.792:                              ;   in Loop: Header=BB4_634 Depth=2
	s_and_not1_saveexec_b32 s7, s7
; %bb.793:                              ;   in Loop: Header=BB4_634 Depth=2
	s_delay_alu instid0(VALU_DEP_1)
	v_bfe_u32 v97, v135, 23, 1
; %bb.794:                              ;   in Loop: Header=BB4_634 Depth=2
	s_or_b32 exec_lo, exec_lo, s7
	v_lshrrev_b32_e32 v135, 20, v135
	s_delay_alu instid0(VALU_DEP_2) | instskip(SKIP_2) | instid1(VALU_DEP_2)
	v_cmp_gt_i32_e32 vcc_lo, 16, v97
	v_lshrrev_b32_e32 v134, 24, v134
	v_min_i32_e32 v144, 15, v97
	v_dual_cndmask_b32 v135, 7, v135 :: v_dual_and_b32 v134, 0x80, v134
	s_delay_alu instid0(VALU_DEP_1) | instskip(SKIP_1) | instid1(VALU_DEP_2)
	v_or_b32_e32 v97, v97, v135
	v_and_b32_e32 v145, 7, v135
	v_cmp_ne_u32_e32 vcc_lo, 0, v97
	v_lshlrev_b32_e32 v144, 3, v144
	s_delay_alu instid0(VALU_DEP_1) | instskip(NEXT) | instid1(VALU_DEP_1)
	v_or3_b32 v134, v144, v134, v145
	v_cndmask_b32_e32 v97, 0, v134, vcc_lo
.LBB4_795:                              ;   in Loop: Header=BB4_634 Depth=2
	s_or_b32 exec_lo, exec_lo, s18
.LBB4_796:                              ;   in Loop: Header=BB4_634 Depth=2
	s_delay_alu instid0(SALU_CYCLE_1) | instskip(SKIP_3) | instid1(VALU_DEP_1)
	s_or_b32 exec_lo, exec_lo, s8
	v_lshrrev_b32_e32 v135, 24, v17
	s_mov_b32 s7, 0
	s_mov_b32 s18, exec_lo
                                        ; implicit-def: $sgpr8
	v_cmpx_lt_i16_e64 0x7f, v135
	s_xor_b32 s18, exec_lo, s18
	s_cbranch_execnz .LBB4_950
; %bb.797:                              ;   in Loop: Header=BB4_634 Depth=2
	s_or_saveexec_b32 s18, s18
	v_mov_b32_e32 v134, s8
	s_xor_b32 exec_lo, exec_lo, s18
	s_cbranch_execnz .LBB4_953
.LBB4_798:                              ;   in Loop: Header=BB4_634 Depth=2
	s_or_b32 exec_lo, exec_lo, s18
	s_and_saveexec_b32 s8, s7
	s_cbranch_execz .LBB4_800
.LBB4_799:                              ;   in Loop: Header=BB4_634 Depth=2
	v_bfe_u32 v134, v17, 24, 3
	s_delay_alu instid0(VALU_DEP_1) | instskip(NEXT) | instid1(VALU_DEP_1)
	v_clz_i32_u32_e32 v144, v134
	v_min_u32_e32 v144, 32, v144
	s_delay_alu instid0(VALU_DEP_1) | instskip(SKIP_1) | instid1(VALU_DEP_2)
	v_subrev_nc_u32_e32 v145, 28, v144
	v_sub_nc_u32_e32 v144, 29, v144
	v_lshlrev_b32_e32 v135, v145, v135
	v_bfe_u32 v145, v17, 27, 4
	v_and_b32_e32 v17, 0x80000000, v17
	s_delay_alu instid0(VALU_DEP_2) | instskip(NEXT) | instid1(VALU_DEP_4)
	v_cmp_eq_u32_e32 vcc_lo, 0, v145
	v_dual_cndmask_b32 v144, v145, v144 :: v_dual_and_b32 v135, 7, v135
	s_delay_alu instid0(VALU_DEP_1) | instskip(NEXT) | instid1(VALU_DEP_2)
	v_cndmask_b32_e32 v134, v134, v135, vcc_lo
	v_lshl_add_u32 v135, v144, 23, 0x3b800000
	s_delay_alu instid0(VALU_DEP_2) | instskip(NEXT) | instid1(VALU_DEP_1)
	v_lshlrev_b32_e32 v134, 20, v134
	v_or3_b32 v134, v17, v135, v134
.LBB4_800:                              ;   in Loop: Header=BB4_634 Depth=2
	s_or_b32 exec_lo, exec_lo, s8
	v_and_b32_e32 v17, 0xff, v96
	s_mov_b32 s7, 0
	s_mov_b32 s18, exec_lo
                                        ; implicit-def: $sgpr8
	s_delay_alu instid0(VALU_DEP_1)
	v_cmpx_lt_i16_e32 0x7f, v17
	s_xor_b32 s18, exec_lo, s18
	s_cbranch_execnz .LBB4_954
; %bb.801:                              ;   in Loop: Header=BB4_634 Depth=2
	s_or_saveexec_b32 s18, s18
	v_mov_b32_e32 v135, s8
	s_xor_b32 exec_lo, exec_lo, s18
	s_cbranch_execnz .LBB4_957
.LBB4_802:                              ;   in Loop: Header=BB4_634 Depth=2
	s_or_b32 exec_lo, exec_lo, s18
	s_and_saveexec_b32 s8, s7
	s_cbranch_execz .LBB4_804
.LBB4_803:                              ;   in Loop: Header=BB4_634 Depth=2
	v_lshlrev_b32_e32 v96, 8, v96
	s_delay_alu instid0(VALU_DEP_1) | instskip(SKIP_1) | instid1(VALU_DEP_2)
	v_and_b32_e32 v135, 0xff00, v96
	v_bfe_u32 v96, v96, 11, 4
	v_bfe_u32 v144, v135, 8, 3
	s_delay_alu instid0(VALU_DEP_2) | instskip(NEXT) | instid1(VALU_DEP_2)
	v_cmp_eq_u32_e32 vcc_lo, 0, v96
	v_clz_i32_u32_e32 v145, v144
	s_delay_alu instid0(VALU_DEP_1) | instskip(NEXT) | instid1(VALU_DEP_1)
	v_min_u32_e32 v145, 32, v145
	v_subrev_nc_u32_e32 v146, 28, v145
	v_sub_nc_u32_e32 v145, 29, v145
	s_delay_alu instid0(VALU_DEP_2) | instskip(NEXT) | instid1(VALU_DEP_2)
	v_lshlrev_b32_e32 v17, v146, v17
	v_dual_cndmask_b32 v96, v96, v145 :: v_dual_lshlrev_b32 v135, 16, v135
	s_delay_alu instid0(VALU_DEP_2) | instskip(NEXT) | instid1(VALU_DEP_2)
	v_and_b32_e32 v17, 7, v17
	v_lshl_add_u32 v96, v96, 23, 0x3b800000
	s_delay_alu instid0(VALU_DEP_3) | instskip(NEXT) | instid1(VALU_DEP_3)
	v_and_b32_e32 v135, 0x80000000, v135
	v_cndmask_b32_e32 v17, v144, v17, vcc_lo
	s_delay_alu instid0(VALU_DEP_1) | instskip(NEXT) | instid1(VALU_DEP_1)
	v_lshlrev_b32_e32 v17, 20, v17
	v_or3_b32 v135, v135, v96, v17
.LBB4_804:                              ;   in Loop: Header=BB4_634 Depth=2
	s_or_b32 exec_lo, exec_lo, s8
	s_delay_alu instid0(VALU_DEP_1) | instskip(NEXT) | instid1(VALU_DEP_1)
	v_add_f32_e32 v96, v134, v135
	v_and_b32_e32 v17, 0x7f800000, v96
	s_delay_alu instid0(VALU_DEP_1)
	v_cmp_ne_u32_e32 vcc_lo, 0x7f800000, v17
	v_mov_b32_e32 v17, 0x80
	s_and_saveexec_b32 s8, vcc_lo
	s_cbranch_execz .LBB4_812
; %bb.805:                              ;   in Loop: Header=BB4_634 Depth=2
	v_mov_b32_e32 v17, 0
	s_mov_b32 s18, exec_lo
	v_cmpx_ne_u32_e32 0, v96
	s_cbranch_execz .LBB4_811
; %bb.806:                              ;   in Loop: Header=BB4_634 Depth=2
	v_bfe_u32 v17, v96, 23, 8
	s_delay_alu instid0(VALU_DEP_1) | instskip(SKIP_1) | instid1(VALU_DEP_2)
	v_sub_nc_u32_e32 v135, 0x78, v17
	v_cmp_gt_u32_e32 vcc_lo, 0x79, v17
	v_dual_cndmask_b32 v135, 0, v135 :: v_dual_and_b32 v134, 0x7fffff, v96
	s_delay_alu instid0(VALU_DEP_1) | instskip(SKIP_2) | instid1(VALU_DEP_4)
	v_or_b32_e32 v144, 0x800000, v134
	v_cmp_eq_u32_e32 vcc_lo, 0, v17
	v_add_nc_u32_e32 v17, 0xffffff89, v17
	v_cndmask_b32_e64 v135, v135, 0x77, vcc_lo
	s_delay_alu instid0(VALU_DEP_4) | instskip(NEXT) | instid1(VALU_DEP_3)
	v_cndmask_b32_e32 v134, v144, v134, vcc_lo
	v_cndmask_b32_e64 v17, v17, 0xffffff8a, vcc_lo
	s_delay_alu instid0(VALU_DEP_3) | instskip(NEXT) | instid1(VALU_DEP_3)
	v_lshl_add_u32 v144, 0x100000, v135, -1
	v_lshrrev_b32_e32 v145, v135, v134
	v_lshlrev_b32_e64 v147, v135, 0x80000
	s_delay_alu instid0(VALU_DEP_4) | instskip(NEXT) | instid1(VALU_DEP_4)
	v_add_nc_u32_e32 v135, v135, v17
	v_and_b32_e32 v134, v144, v134
	s_delay_alu instid0(VALU_DEP_4) | instskip(NEXT) | instid1(VALU_DEP_2)
	v_bfe_u32 v146, v145, 20, 1
	v_cmp_eq_u32_e64 s7, v134, v147
	s_delay_alu instid0(VALU_DEP_2) | instskip(NEXT) | instid1(VALU_DEP_1)
	v_add_nc_u32_e32 v144, -1, v146
	v_cndmask_b32_e64 v134, 0, v144, s7
	v_lshrrev_b32_e32 v144, 23, v145
	s_mov_b32 s7, exec_lo
	s_delay_alu instid0(VALU_DEP_2) | instskip(NEXT) | instid1(VALU_DEP_2)
	v_add_nc_u32_e32 v134, v134, v145
	v_xor_b32_e32 v144, 1, v144
	s_delay_alu instid0(VALU_DEP_2) | instskip(NEXT) | instid1(VALU_DEP_1)
	v_and_b32_e32 v17, 0xfffff, v134
	v_add_nc_u32_e32 v134, v17, v145
                                        ; implicit-def: $vgpr17
	s_delay_alu instid0(VALU_DEP_3)
	v_cmpx_ne_u32_e64 v135, v144
	s_xor_b32 s7, exec_lo, s7
; %bb.807:                              ;   in Loop: Header=BB4_634 Depth=2
	s_delay_alu instid0(VALU_DEP_2) | instskip(SKIP_2) | instid1(VALU_DEP_2)
	v_cmp_lt_u32_e32 vcc_lo, 0xffffff, v134
	v_sub_nc_u32_e32 v17, v135, v144
	v_cndmask_b32_e64 v135, 0, 1, vcc_lo
	v_add_co_ci_u32_e32 v17, vcc_lo, 0, v17, vcc_lo
	s_delay_alu instid0(VALU_DEP_2)
	v_lshrrev_b32_e32 v134, v135, v134
; %bb.808:                              ;   in Loop: Header=BB4_634 Depth=2
	s_and_not1_saveexec_b32 s7, s7
; %bb.809:                              ;   in Loop: Header=BB4_634 Depth=2
	s_delay_alu instid0(VALU_DEP_1)
	v_bfe_u32 v17, v134, 23, 1
; %bb.810:                              ;   in Loop: Header=BB4_634 Depth=2
	s_or_b32 exec_lo, exec_lo, s7
	v_lshrrev_b32_e32 v134, 20, v134
	s_delay_alu instid0(VALU_DEP_2) | instskip(SKIP_2) | instid1(VALU_DEP_2)
	v_cmp_gt_i32_e32 vcc_lo, 16, v17
	v_min_i32_e32 v135, 15, v17
	v_lshrrev_b32_e32 v96, 24, v96
	v_dual_cndmask_b32 v134, 7, v134 :: v_dual_lshlrev_b32 v135, 3, v135
	s_delay_alu instid0(VALU_DEP_2) | instskip(NEXT) | instid1(VALU_DEP_2)
	v_and_b32_e32 v96, 0x80, v96
	v_or_b32_e32 v17, v17, v134
	s_delay_alu instid0(VALU_DEP_1) | instskip(SKIP_1) | instid1(VALU_DEP_1)
	v_cmp_ne_u32_e32 vcc_lo, 0, v17
	v_and_b32_e32 v144, 7, v134
	v_or3_b32 v96, v135, v96, v144
	s_delay_alu instid0(VALU_DEP_1)
	v_cndmask_b32_e32 v17, 0, v96, vcc_lo
.LBB4_811:                              ;   in Loop: Header=BB4_634 Depth=2
	s_or_b32 exec_lo, exec_lo, s18
.LBB4_812:                              ;   in Loop: Header=BB4_634 Depth=2
	s_delay_alu instid0(SALU_CYCLE_1) | instskip(SKIP_3) | instid1(VALU_DEP_1)
	s_or_b32 exec_lo, exec_lo, s8
	v_and_b32_e32 v96, 0xff, v19
	s_mov_b32 s7, 0
	s_mov_b32 s18, exec_lo
                                        ; implicit-def: $sgpr8
	v_cmpx_lt_i16_e32 0x7f, v96
	s_xor_b32 s18, exec_lo, s18
	s_cbranch_execnz .LBB4_958
; %bb.813:                              ;   in Loop: Header=BB4_634 Depth=2
	s_or_saveexec_b32 s18, s18
	v_mov_b32_e32 v134, s8
	s_xor_b32 exec_lo, exec_lo, s18
	s_cbranch_execnz .LBB4_961
.LBB4_814:                              ;   in Loop: Header=BB4_634 Depth=2
	s_or_b32 exec_lo, exec_lo, s18
	s_and_saveexec_b32 s8, s7
	s_cbranch_execz .LBB4_816
.LBB4_815:                              ;   in Loop: Header=BB4_634 Depth=2
	v_and_b32_e32 v96, 7, v19
	v_bfe_u32 v144, v19, 3, 4
	v_lshlrev_b32_e32 v145, 24, v19
	s_delay_alu instid0(VALU_DEP_3) | instskip(NEXT) | instid1(VALU_DEP_3)
	v_clz_i32_u32_e32 v134, v96
	v_cmp_eq_u32_e32 vcc_lo, 0, v144
	s_delay_alu instid0(VALU_DEP_2) | instskip(NEXT) | instid1(VALU_DEP_1)
	v_min_u32_e32 v134, 32, v134
	v_subrev_nc_u32_e32 v135, 28, v134
	v_sub_nc_u32_e32 v134, 29, v134
	s_delay_alu instid0(VALU_DEP_1) | instskip(NEXT) | instid1(VALU_DEP_1)
	v_dual_cndmask_b32 v134, v144, v134 :: v_dual_lshlrev_b32 v135, v135, v19
	v_and_b32_e32 v135, 7, v135
	s_delay_alu instid0(VALU_DEP_2) | instskip(NEXT) | instid1(VALU_DEP_2)
	v_lshl_add_u32 v134, v134, 23, 0x3b800000
	v_dual_cndmask_b32 v96, v96, v135 :: v_dual_and_b32 v135, 0x80000000, v145
	s_delay_alu instid0(VALU_DEP_1) | instskip(NEXT) | instid1(VALU_DEP_1)
	v_lshlrev_b32_e32 v96, 20, v96
	v_or3_b32 v134, v135, v134, v96
.LBB4_816:                              ;   in Loop: Header=BB4_634 Depth=2
	s_or_b32 exec_lo, exec_lo, s8
	v_or_b32_e32 v133, v133, v81
	v_mov_b32_e32 v96, v19
	s_mov_b32 s7, 0
	s_mov_b32 s18, exec_lo
                                        ; implicit-def: $sgpr8
	s_delay_alu instid0(VALU_DEP_2) | instskip(NEXT) | instid1(VALU_DEP_1)
	v_and_b32_e32 v135, 0xff, v133
	v_cmpx_lt_i16_e64 0x7f, v135
	s_xor_b32 s18, exec_lo, s18
	s_cbranch_execnz .LBB4_962
; %bb.817:                              ;   in Loop: Header=BB4_634 Depth=2
	s_or_saveexec_b32 s18, s18
	v_mov_b32_e32 v81, s8
	s_xor_b32 exec_lo, exec_lo, s18
	s_cbranch_execnz .LBB4_965
.LBB4_818:                              ;   in Loop: Header=BB4_634 Depth=2
	s_or_b32 exec_lo, exec_lo, s18
	s_and_saveexec_b32 s8, s7
	s_cbranch_execz .LBB4_820
.LBB4_819:                              ;   in Loop: Header=BB4_634 Depth=2
	v_and_b32_e32 v81, 7, v133
	v_bfe_u32 v145, v133, 3, 4
	s_delay_alu instid0(VALU_DEP_2) | instskip(NEXT) | instid1(VALU_DEP_2)
	v_clz_i32_u32_e32 v135, v81
	v_cmp_eq_u32_e32 vcc_lo, 0, v145
	s_delay_alu instid0(VALU_DEP_2) | instskip(NEXT) | instid1(VALU_DEP_1)
	v_min_u32_e32 v135, 32, v135
	v_subrev_nc_u32_e32 v144, 28, v135
	v_sub_nc_u32_e32 v135, 29, v135
	s_delay_alu instid0(VALU_DEP_1) | instskip(NEXT) | instid1(VALU_DEP_1)
	v_dual_cndmask_b32 v135, v145, v135 :: v_dual_lshlrev_b32 v144, v144, v133
	v_and_b32_e32 v144, 7, v144
	v_lshlrev_b32_e32 v146, 24, v133
	s_delay_alu instid0(VALU_DEP_3) | instskip(NEXT) | instid1(VALU_DEP_2)
	v_lshl_add_u32 v135, v135, 23, 0x3b800000
	v_dual_cndmask_b32 v81, v81, v144 :: v_dual_and_b32 v144, 0x80000000, v146
	s_delay_alu instid0(VALU_DEP_1) | instskip(NEXT) | instid1(VALU_DEP_1)
	v_lshlrev_b32_e32 v81, 20, v81
	v_or3_b32 v81, v144, v135, v81
.LBB4_820:                              ;   in Loop: Header=BB4_634 Depth=2
	s_or_b32 exec_lo, exec_lo, s8
	s_delay_alu instid0(VALU_DEP_1) | instskip(NEXT) | instid1(VALU_DEP_1)
	v_add_f32_e32 v134, v134, v81
	v_and_b32_e32 v81, 0x7f800000, v134
	s_delay_alu instid0(VALU_DEP_1)
	v_cmp_ne_u32_e32 vcc_lo, 0x7f800000, v81
	v_mov_b32_e32 v81, 0x80
	s_and_saveexec_b32 s8, vcc_lo
	s_cbranch_execz .LBB4_828
; %bb.821:                              ;   in Loop: Header=BB4_634 Depth=2
	v_mov_b32_e32 v81, 0
	s_mov_b32 s18, exec_lo
	v_cmpx_ne_u32_e32 0, v134
	s_cbranch_execz .LBB4_827
; %bb.822:                              ;   in Loop: Header=BB4_634 Depth=2
	v_bfe_u32 v81, v134, 23, 8
	s_delay_alu instid0(VALU_DEP_1) | instskip(SKIP_1) | instid1(VALU_DEP_2)
	v_sub_nc_u32_e32 v144, 0x78, v81
	v_cmp_gt_u32_e32 vcc_lo, 0x79, v81
	v_dual_cndmask_b32 v144, 0, v144 :: v_dual_and_b32 v135, 0x7fffff, v134
	s_delay_alu instid0(VALU_DEP_1) | instskip(SKIP_2) | instid1(VALU_DEP_4)
	v_or_b32_e32 v145, 0x800000, v135
	v_cmp_eq_u32_e32 vcc_lo, 0, v81
	v_add_nc_u32_e32 v81, 0xffffff89, v81
	v_cndmask_b32_e64 v144, v144, 0x77, vcc_lo
	s_delay_alu instid0(VALU_DEP_2) | instskip(SKIP_1) | instid1(VALU_DEP_3)
	v_cndmask_b32_e64 v81, v81, 0xffffff8a, vcc_lo
	v_cndmask_b32_e32 v135, v145, v135, vcc_lo
	v_lshl_add_u32 v145, 0x100000, v144, -1
	v_lshlrev_b32_e64 v148, v144, 0x80000
	s_delay_alu instid0(VALU_DEP_3) | instskip(SKIP_1) | instid1(VALU_DEP_4)
	v_lshrrev_b32_e32 v146, v144, v135
	v_add_nc_u32_e32 v144, v144, v81
	v_and_b32_e32 v135, v145, v135
	s_delay_alu instid0(VALU_DEP_3) | instskip(NEXT) | instid1(VALU_DEP_2)
	v_bfe_u32 v147, v146, 20, 1
	v_cmp_eq_u32_e64 s7, v135, v148
	s_delay_alu instid0(VALU_DEP_2) | instskip(NEXT) | instid1(VALU_DEP_1)
	v_add_nc_u32_e32 v145, -1, v147
	v_cndmask_b32_e64 v135, 0, v145, s7
	v_lshrrev_b32_e32 v145, 23, v146
	s_mov_b32 s7, exec_lo
	s_delay_alu instid0(VALU_DEP_2) | instskip(NEXT) | instid1(VALU_DEP_2)
	v_add_nc_u32_e32 v135, v135, v146
	v_xor_b32_e32 v145, 1, v145
	s_delay_alu instid0(VALU_DEP_2) | instskip(NEXT) | instid1(VALU_DEP_1)
	v_and_b32_e32 v81, 0xfffff, v135
	v_add_nc_u32_e32 v135, v81, v146
                                        ; implicit-def: $vgpr81
	s_delay_alu instid0(VALU_DEP_3)
	v_cmpx_ne_u32_e64 v144, v145
	s_xor_b32 s7, exec_lo, s7
; %bb.823:                              ;   in Loop: Header=BB4_634 Depth=2
	s_delay_alu instid0(VALU_DEP_2) | instskip(SKIP_2) | instid1(VALU_DEP_2)
	v_cmp_lt_u32_e32 vcc_lo, 0xffffff, v135
	v_sub_nc_u32_e32 v81, v144, v145
	v_cndmask_b32_e64 v144, 0, 1, vcc_lo
	v_add_co_ci_u32_e32 v81, vcc_lo, 0, v81, vcc_lo
	s_delay_alu instid0(VALU_DEP_2)
	v_lshrrev_b32_e32 v135, v144, v135
; %bb.824:                              ;   in Loop: Header=BB4_634 Depth=2
	s_and_not1_saveexec_b32 s7, s7
; %bb.825:                              ;   in Loop: Header=BB4_634 Depth=2
	s_delay_alu instid0(VALU_DEP_1)
	v_bfe_u32 v81, v135, 23, 1
; %bb.826:                              ;   in Loop: Header=BB4_634 Depth=2
	s_or_b32 exec_lo, exec_lo, s7
	v_lshrrev_b32_e32 v135, 20, v135
	s_delay_alu instid0(VALU_DEP_2) | instskip(SKIP_2) | instid1(VALU_DEP_2)
	v_cmp_gt_i32_e32 vcc_lo, 16, v81
	v_lshrrev_b32_e32 v134, 24, v134
	v_min_i32_e32 v144, 15, v81
	v_dual_cndmask_b32 v135, 7, v135 :: v_dual_and_b32 v134, 0x80, v134
	s_delay_alu instid0(VALU_DEP_1) | instskip(SKIP_1) | instid1(VALU_DEP_2)
	v_or_b32_e32 v81, v81, v135
	v_and_b32_e32 v145, 7, v135
	v_cmp_ne_u32_e32 vcc_lo, 0, v81
	v_lshlrev_b32_e32 v144, 3, v144
	s_delay_alu instid0(VALU_DEP_1) | instskip(NEXT) | instid1(VALU_DEP_1)
	v_or3_b32 v134, v144, v134, v145
	v_cndmask_b32_e32 v81, 0, v134, vcc_lo
.LBB4_827:                              ;   in Loop: Header=BB4_634 Depth=2
	s_or_b32 exec_lo, exec_lo, s18
.LBB4_828:                              ;   in Loop: Header=BB4_634 Depth=2
	s_delay_alu instid0(SALU_CYCLE_1) | instskip(SKIP_3) | instid1(VALU_DEP_1)
	s_or_b32 exec_lo, exec_lo, s8
	v_lshrrev_b16 v134, 8, v96
	s_mov_b32 s7, 0
	s_mov_b32 s18, exec_lo
                                        ; implicit-def: $sgpr8
	v_cmpx_lt_i16_e64 0x7f, v134
	s_xor_b32 s18, exec_lo, s18
	s_cbranch_execnz .LBB4_966
; %bb.829:                              ;   in Loop: Header=BB4_634 Depth=2
	s_or_saveexec_b32 s18, s18
	v_mov_b32_e32 v96, s8
	s_xor_b32 exec_lo, exec_lo, s18
	s_cbranch_execnz .LBB4_969
.LBB4_830:                              ;   in Loop: Header=BB4_634 Depth=2
	s_or_b32 exec_lo, exec_lo, s18
	s_and_saveexec_b32 s8, s7
	s_cbranch_execz .LBB4_832
.LBB4_831:                              ;   in Loop: Header=BB4_634 Depth=2
	v_and_b32_e32 v96, 0xffff, v134
	v_lshlrev_b32_e32 v134, 24, v134
	s_delay_alu instid0(VALU_DEP_2) | instskip(NEXT) | instid1(VALU_DEP_2)
	v_and_b32_e32 v135, 7, v96
	v_and_b32_e32 v134, 0x80000000, v134
	s_delay_alu instid0(VALU_DEP_2) | instskip(NEXT) | instid1(VALU_DEP_1)
	v_clz_i32_u32_e32 v144, v135
	v_min_u32_e32 v144, 32, v144
	s_delay_alu instid0(VALU_DEP_1) | instskip(SKIP_1) | instid1(VALU_DEP_2)
	v_subrev_nc_u32_e32 v145, 28, v144
	v_sub_nc_u32_e32 v144, 29, v144
	v_lshlrev_b32_e32 v145, v145, v96
	v_bfe_u32 v96, v96, 3, 4
	s_delay_alu instid0(VALU_DEP_1) | instskip(NEXT) | instid1(VALU_DEP_3)
	v_cmp_eq_u32_e32 vcc_lo, 0, v96
	v_dual_cndmask_b32 v96, v96, v144 :: v_dual_and_b32 v145, 7, v145
	s_delay_alu instid0(VALU_DEP_1) | instskip(NEXT) | instid1(VALU_DEP_2)
	v_cndmask_b32_e32 v135, v135, v145, vcc_lo
	v_lshl_add_u32 v96, v96, 23, 0x3b800000
	s_delay_alu instid0(VALU_DEP_2) | instskip(NEXT) | instid1(VALU_DEP_1)
	v_lshlrev_b32_e32 v135, 20, v135
	v_or3_b32 v96, v134, v96, v135
.LBB4_832:                              ;   in Loop: Header=BB4_634 Depth=2
	s_or_b32 exec_lo, exec_lo, s8
	v_lshrrev_b16 v134, 8, v133
	s_mov_b32 s7, 0
	s_mov_b32 s18, exec_lo
                                        ; implicit-def: $sgpr8
	s_delay_alu instid0(VALU_DEP_1)
	v_cmpx_lt_i16_e64 0x7f, v134
	s_xor_b32 s18, exec_lo, s18
	s_cbranch_execnz .LBB4_970
; %bb.833:                              ;   in Loop: Header=BB4_634 Depth=2
	s_or_saveexec_b32 s18, s18
	v_mov_b32_e32 v135, s8
	s_xor_b32 exec_lo, exec_lo, s18
	s_cbranch_execnz .LBB4_973
.LBB4_834:                              ;   in Loop: Header=BB4_634 Depth=2
	s_or_b32 exec_lo, exec_lo, s18
	s_and_saveexec_b32 s8, s7
	s_cbranch_execz .LBB4_836
.LBB4_835:                              ;   in Loop: Header=BB4_634 Depth=2
	v_and_b32_e32 v135, 0xffff, v134
	v_lshlrev_b32_e32 v134, 24, v134
	s_delay_alu instid0(VALU_DEP_2) | instskip(NEXT) | instid1(VALU_DEP_2)
	v_and_b32_e32 v144, 7, v135
	v_and_b32_e32 v134, 0x80000000, v134
	s_delay_alu instid0(VALU_DEP_2) | instskip(NEXT) | instid1(VALU_DEP_1)
	v_clz_i32_u32_e32 v145, v144
	v_min_u32_e32 v145, 32, v145
	s_delay_alu instid0(VALU_DEP_1) | instskip(SKIP_1) | instid1(VALU_DEP_2)
	v_subrev_nc_u32_e32 v146, 28, v145
	v_sub_nc_u32_e32 v145, 29, v145
	v_lshlrev_b32_e32 v146, v146, v135
	v_bfe_u32 v135, v135, 3, 4
	s_delay_alu instid0(VALU_DEP_2) | instskip(NEXT) | instid1(VALU_DEP_2)
	v_and_b32_e32 v146, 7, v146
	v_cmp_eq_u32_e32 vcc_lo, 0, v135
	s_delay_alu instid0(VALU_DEP_2) | instskip(NEXT) | instid1(VALU_DEP_1)
	v_dual_cndmask_b32 v135, v135, v145 :: v_dual_cndmask_b32 v144, v144, v146
	v_lshl_add_u32 v135, v135, 23, 0x3b800000
	s_delay_alu instid0(VALU_DEP_2) | instskip(NEXT) | instid1(VALU_DEP_1)
	v_lshlrev_b32_e32 v144, 20, v144
	v_or3_b32 v135, v134, v135, v144
.LBB4_836:                              ;   in Loop: Header=BB4_634 Depth=2
	s_or_b32 exec_lo, exec_lo, s8
	s_delay_alu instid0(VALU_DEP_1) | instskip(NEXT) | instid1(VALU_DEP_1)
	v_add_f32_e32 v134, v96, v135
	v_and_b32_e32 v96, 0x7f800000, v134
	s_delay_alu instid0(VALU_DEP_1)
	v_cmp_ne_u32_e32 vcc_lo, 0x7f800000, v96
	v_mov_b32_e32 v96, 0x8000
	s_and_saveexec_b32 s8, vcc_lo
	s_cbranch_execz .LBB4_844
; %bb.837:                              ;   in Loop: Header=BB4_634 Depth=2
	v_mov_b32_e32 v96, 0
	s_mov_b32 s18, exec_lo
	v_cmpx_ne_u32_e32 0, v134
	s_cbranch_execz .LBB4_843
; %bb.838:                              ;   in Loop: Header=BB4_634 Depth=2
	v_bfe_u32 v96, v134, 23, 8
	s_delay_alu instid0(VALU_DEP_1) | instskip(SKIP_1) | instid1(VALU_DEP_2)
	v_sub_nc_u32_e32 v144, 0x78, v96
	v_cmp_gt_u32_e32 vcc_lo, 0x79, v96
	v_dual_cndmask_b32 v144, 0, v144 :: v_dual_and_b32 v135, 0x7fffff, v134
	s_delay_alu instid0(VALU_DEP_1) | instskip(SKIP_2) | instid1(VALU_DEP_4)
	v_or_b32_e32 v145, 0x800000, v135
	v_cmp_eq_u32_e32 vcc_lo, 0, v96
	v_add_nc_u32_e32 v96, 0xffffff89, v96
	v_cndmask_b32_e64 v144, v144, 0x77, vcc_lo
	s_delay_alu instid0(VALU_DEP_4) | instskip(NEXT) | instid1(VALU_DEP_3)
	v_cndmask_b32_e32 v135, v145, v135, vcc_lo
	v_cndmask_b32_e64 v96, v96, 0xffffff8a, vcc_lo
	s_delay_alu instid0(VALU_DEP_3) | instskip(NEXT) | instid1(VALU_DEP_3)
	v_lshl_add_u32 v145, 0x100000, v144, -1
	v_lshrrev_b32_e32 v146, v144, v135
	v_lshlrev_b32_e64 v148, v144, 0x80000
	s_delay_alu instid0(VALU_DEP_4) | instskip(NEXT) | instid1(VALU_DEP_4)
	v_add_nc_u32_e32 v144, v144, v96
	v_and_b32_e32 v135, v145, v135
	s_delay_alu instid0(VALU_DEP_4) | instskip(NEXT) | instid1(VALU_DEP_2)
	v_bfe_u32 v147, v146, 20, 1
	v_cmp_eq_u32_e64 s7, v135, v148
	s_delay_alu instid0(VALU_DEP_2) | instskip(NEXT) | instid1(VALU_DEP_1)
	v_add_nc_u32_e32 v145, -1, v147
	v_cndmask_b32_e64 v135, 0, v145, s7
	v_lshrrev_b32_e32 v145, 23, v146
	s_mov_b32 s7, exec_lo
	s_delay_alu instid0(VALU_DEP_2) | instskip(NEXT) | instid1(VALU_DEP_2)
	v_add_nc_u32_e32 v135, v135, v146
	v_xor_b32_e32 v145, 1, v145
	s_delay_alu instid0(VALU_DEP_2) | instskip(NEXT) | instid1(VALU_DEP_1)
	v_and_b32_e32 v96, 0xfffff, v135
	v_add_nc_u32_e32 v135, v96, v146
                                        ; implicit-def: $vgpr96
	s_delay_alu instid0(VALU_DEP_3)
	v_cmpx_ne_u32_e64 v144, v145
	s_xor_b32 s7, exec_lo, s7
; %bb.839:                              ;   in Loop: Header=BB4_634 Depth=2
	s_delay_alu instid0(VALU_DEP_2) | instskip(SKIP_2) | instid1(VALU_DEP_2)
	v_cmp_lt_u32_e32 vcc_lo, 0xffffff, v135
	v_sub_nc_u32_e32 v96, v144, v145
	v_cndmask_b32_e64 v144, 0, 1, vcc_lo
	v_add_co_ci_u32_e32 v96, vcc_lo, 0, v96, vcc_lo
	s_delay_alu instid0(VALU_DEP_2)
	v_lshrrev_b32_e32 v135, v144, v135
; %bb.840:                              ;   in Loop: Header=BB4_634 Depth=2
	s_and_not1_saveexec_b32 s7, s7
; %bb.841:                              ;   in Loop: Header=BB4_634 Depth=2
	s_delay_alu instid0(VALU_DEP_1)
	v_bfe_u32 v96, v135, 23, 1
; %bb.842:                              ;   in Loop: Header=BB4_634 Depth=2
	s_or_b32 exec_lo, exec_lo, s7
	v_lshrrev_b32_e32 v135, 20, v135
	s_delay_alu instid0(VALU_DEP_2) | instskip(SKIP_2) | instid1(VALU_DEP_2)
	v_cmp_gt_i32_e32 vcc_lo, 16, v96
	v_min_i32_e32 v144, 15, v96
	v_lshrrev_b32_e32 v134, 24, v134
	v_dual_cndmask_b32 v135, 7, v135 :: v_dual_lshlrev_b32 v144, 3, v144
	s_delay_alu instid0(VALU_DEP_2) | instskip(NEXT) | instid1(VALU_DEP_2)
	v_and_b32_e32 v134, 0x80, v134
	v_or_b32_e32 v96, v96, v135
	s_delay_alu instid0(VALU_DEP_3) | instskip(NEXT) | instid1(VALU_DEP_2)
	v_and_b32_e32 v144, 0xf8, v144
	v_cmp_ne_u32_e32 vcc_lo, 0, v96
	v_and_b32_e32 v145, 7, v135
	s_delay_alu instid0(VALU_DEP_1) | instskip(NEXT) | instid1(VALU_DEP_1)
	v_or3_b32 v134, v134, v144, v145
	v_lshlrev_b32_e32 v134, 8, v134
	s_delay_alu instid0(VALU_DEP_1)
	v_cndmask_b32_e32 v96, 0, v134, vcc_lo
.LBB4_843:                              ;   in Loop: Header=BB4_634 Depth=2
	s_or_b32 exec_lo, exec_lo, s18
.LBB4_844:                              ;   in Loop: Header=BB4_634 Depth=2
	s_delay_alu instid0(SALU_CYCLE_1) | instskip(SKIP_3) | instid1(VALU_DEP_1)
	s_or_b32 exec_lo, exec_lo, s8
	v_lshrrev_b32_e32 v135, 16, v19
	s_mov_b32 s7, 0
	s_mov_b32 s18, exec_lo
                                        ; implicit-def: $sgpr8
	v_and_b32_e32 v144, 0xff, v135
	s_delay_alu instid0(VALU_DEP_1)
	v_cmpx_lt_i16_e64 0x7f, v144
	s_xor_b32 s18, exec_lo, s18
	s_cbranch_execnz .LBB4_974
; %bb.845:                              ;   in Loop: Header=BB4_634 Depth=2
	s_or_saveexec_b32 s18, s18
	v_mov_b32_e32 v134, s8
	s_xor_b32 exec_lo, exec_lo, s18
	s_cbranch_execnz .LBB4_977
.LBB4_846:                              ;   in Loop: Header=BB4_634 Depth=2
	s_or_b32 exec_lo, exec_lo, s18
	s_and_saveexec_b32 s8, s7
	s_cbranch_execz .LBB4_848
.LBB4_847:                              ;   in Loop: Header=BB4_634 Depth=2
	v_bfe_u32 v134, v19, 16, 3
	v_lshlrev_b32_e32 v146, 8, v19
	s_delay_alu instid0(VALU_DEP_2) | instskip(NEXT) | instid1(VALU_DEP_1)
	v_clz_i32_u32_e32 v144, v134
	v_min_u32_e32 v144, 32, v144
	s_delay_alu instid0(VALU_DEP_1) | instskip(SKIP_1) | instid1(VALU_DEP_2)
	v_subrev_nc_u32_e32 v145, 28, v144
	v_sub_nc_u32_e32 v144, 29, v144
	v_lshlrev_b32_e32 v135, v145, v135
	v_bfe_u32 v145, v19, 19, 4
	s_delay_alu instid0(VALU_DEP_1) | instskip(NEXT) | instid1(VALU_DEP_3)
	v_cmp_eq_u32_e32 vcc_lo, 0, v145
	v_dual_cndmask_b32 v144, v145, v144 :: v_dual_and_b32 v135, 7, v135
	s_delay_alu instid0(VALU_DEP_1) | instskip(NEXT) | instid1(VALU_DEP_2)
	v_dual_cndmask_b32 v134, v134, v135 :: v_dual_and_b32 v135, 0x80000000, v146
	v_lshl_add_u32 v144, v144, 23, 0x3b800000
	s_delay_alu instid0(VALU_DEP_2) | instskip(NEXT) | instid1(VALU_DEP_1)
	v_lshlrev_b32_e32 v134, 20, v134
	v_or3_b32 v134, v135, v144, v134
.LBB4_848:                              ;   in Loop: Header=BB4_634 Depth=2
	s_or_b32 exec_lo, exec_lo, s8
	v_or_b32_e32 v18, v87, v18
	s_mov_b32 s7, 0
	s_mov_b32 s18, exec_lo
                                        ; implicit-def: $sgpr8
	s_delay_alu instid0(VALU_DEP_1) | instskip(NEXT) | instid1(VALU_DEP_1)
	v_and_b32_e32 v87, 0xff, v18
	v_cmpx_lt_i16_e32 0x7f, v87
	s_xor_b32 s18, exec_lo, s18
	s_cbranch_execnz .LBB4_978
; %bb.849:                              ;   in Loop: Header=BB4_634 Depth=2
	s_or_saveexec_b32 s18, s18
	v_mov_b32_e32 v135, s8
	s_xor_b32 exec_lo, exec_lo, s18
	s_cbranch_execnz .LBB4_981
.LBB4_850:                              ;   in Loop: Header=BB4_634 Depth=2
	s_or_b32 exec_lo, exec_lo, s18
	v_lshl_or_b32 v87, v18, 16, v133
	s_and_saveexec_b32 s8, s7
	s_cbranch_execz .LBB4_852
.LBB4_851:                              ;   in Loop: Header=BB4_634 Depth=2
	s_delay_alu instid0(VALU_DEP_1) | instskip(SKIP_2) | instid1(VALU_DEP_3)
	v_bfe_u32 v18, v87, 16, 3
	v_lshrrev_b32_e32 v135, 16, v87
	v_lshlrev_b32_e32 v145, 8, v87
	v_clz_i32_u32_e32 v133, v18
	s_delay_alu instid0(VALU_DEP_1) | instskip(NEXT) | instid1(VALU_DEP_1)
	v_min_u32_e32 v133, 32, v133
	v_subrev_nc_u32_e32 v144, 28, v133
	v_sub_nc_u32_e32 v133, 29, v133
	s_delay_alu instid0(VALU_DEP_2) | instskip(SKIP_1) | instid1(VALU_DEP_2)
	v_lshlrev_b32_e32 v135, v144, v135
	v_bfe_u32 v144, v87, 19, 4
	v_and_b32_e32 v135, 7, v135
	s_delay_alu instid0(VALU_DEP_2) | instskip(NEXT) | instid1(VALU_DEP_2)
	v_cmp_eq_u32_e32 vcc_lo, 0, v144
	v_dual_cndmask_b32 v133, v144, v133 :: v_dual_cndmask_b32 v18, v18, v135
	v_and_b32_e32 v135, 0x80000000, v145
	s_delay_alu instid0(VALU_DEP_2) | instskip(NEXT) | instid1(VALU_DEP_3)
	v_lshl_add_u32 v133, v133, 23, 0x3b800000
	v_lshlrev_b32_e32 v18, 20, v18
	s_delay_alu instid0(VALU_DEP_1)
	v_or3_b32 v135, v135, v133, v18
.LBB4_852:                              ;   in Loop: Header=BB4_634 Depth=2
	s_or_b32 exec_lo, exec_lo, s8
	s_delay_alu instid0(VALU_DEP_1) | instskip(NEXT) | instid1(VALU_DEP_1)
	v_add_f32_e32 v133, v134, v135
	v_and_b32_e32 v18, 0x7f800000, v133
	s_delay_alu instid0(VALU_DEP_1)
	v_cmp_ne_u32_e32 vcc_lo, 0x7f800000, v18
	v_mov_b32_e32 v18, 0x80
	s_and_saveexec_b32 s8, vcc_lo
	s_cbranch_execz .LBB4_860
; %bb.853:                              ;   in Loop: Header=BB4_634 Depth=2
	v_mov_b32_e32 v18, 0
	s_mov_b32 s18, exec_lo
	v_cmpx_ne_u32_e32 0, v133
	s_cbranch_execz .LBB4_859
; %bb.854:                              ;   in Loop: Header=BB4_634 Depth=2
	v_bfe_u32 v18, v133, 23, 8
	s_delay_alu instid0(VALU_DEP_1) | instskip(SKIP_1) | instid1(VALU_DEP_2)
	v_sub_nc_u32_e32 v135, 0x78, v18
	v_cmp_gt_u32_e32 vcc_lo, 0x79, v18
	v_dual_cndmask_b32 v135, 0, v135 :: v_dual_and_b32 v134, 0x7fffff, v133
	s_delay_alu instid0(VALU_DEP_1) | instskip(SKIP_2) | instid1(VALU_DEP_4)
	v_or_b32_e32 v144, 0x800000, v134
	v_cmp_eq_u32_e32 vcc_lo, 0, v18
	v_add_nc_u32_e32 v18, 0xffffff89, v18
	v_cndmask_b32_e64 v135, v135, 0x77, vcc_lo
	s_delay_alu instid0(VALU_DEP_4) | instskip(NEXT) | instid1(VALU_DEP_3)
	v_cndmask_b32_e32 v134, v144, v134, vcc_lo
	v_cndmask_b32_e64 v18, v18, 0xffffff8a, vcc_lo
	s_delay_alu instid0(VALU_DEP_3) | instskip(NEXT) | instid1(VALU_DEP_3)
	v_lshl_add_u32 v144, 0x100000, v135, -1
	v_lshrrev_b32_e32 v145, v135, v134
	v_lshlrev_b32_e64 v147, v135, 0x80000
	s_delay_alu instid0(VALU_DEP_4) | instskip(NEXT) | instid1(VALU_DEP_4)
	v_add_nc_u32_e32 v135, v135, v18
	v_and_b32_e32 v134, v144, v134
	s_delay_alu instid0(VALU_DEP_4) | instskip(NEXT) | instid1(VALU_DEP_2)
	v_bfe_u32 v146, v145, 20, 1
	v_cmp_eq_u32_e64 s7, v134, v147
	s_delay_alu instid0(VALU_DEP_2) | instskip(NEXT) | instid1(VALU_DEP_1)
	v_add_nc_u32_e32 v144, -1, v146
	v_cndmask_b32_e64 v134, 0, v144, s7
	v_lshrrev_b32_e32 v144, 23, v145
	s_mov_b32 s7, exec_lo
	s_delay_alu instid0(VALU_DEP_2) | instskip(NEXT) | instid1(VALU_DEP_2)
	v_add_nc_u32_e32 v134, v134, v145
	v_xor_b32_e32 v144, 1, v144
	s_delay_alu instid0(VALU_DEP_2) | instskip(NEXT) | instid1(VALU_DEP_1)
	v_and_b32_e32 v18, 0xfffff, v134
	v_add_nc_u32_e32 v134, v18, v145
                                        ; implicit-def: $vgpr18
	s_delay_alu instid0(VALU_DEP_3)
	v_cmpx_ne_u32_e64 v135, v144
	s_xor_b32 s7, exec_lo, s7
; %bb.855:                              ;   in Loop: Header=BB4_634 Depth=2
	s_delay_alu instid0(VALU_DEP_2) | instskip(SKIP_2) | instid1(VALU_DEP_2)
	v_cmp_lt_u32_e32 vcc_lo, 0xffffff, v134
	v_sub_nc_u32_e32 v18, v135, v144
	v_cndmask_b32_e64 v135, 0, 1, vcc_lo
	v_add_co_ci_u32_e32 v18, vcc_lo, 0, v18, vcc_lo
	s_delay_alu instid0(VALU_DEP_2)
	v_lshrrev_b32_e32 v134, v135, v134
; %bb.856:                              ;   in Loop: Header=BB4_634 Depth=2
	s_and_not1_saveexec_b32 s7, s7
; %bb.857:                              ;   in Loop: Header=BB4_634 Depth=2
	s_delay_alu instid0(VALU_DEP_1)
	v_bfe_u32 v18, v134, 23, 1
; %bb.858:                              ;   in Loop: Header=BB4_634 Depth=2
	s_or_b32 exec_lo, exec_lo, s7
	v_lshrrev_b32_e32 v134, 20, v134
	s_delay_alu instid0(VALU_DEP_2) | instskip(SKIP_2) | instid1(VALU_DEP_2)
	v_cmp_gt_i32_e32 vcc_lo, 16, v18
	v_min_i32_e32 v135, 15, v18
	v_lshrrev_b32_e32 v133, 24, v133
	v_dual_cndmask_b32 v134, 7, v134 :: v_dual_lshlrev_b32 v135, 3, v135
	s_delay_alu instid0(VALU_DEP_2) | instskip(NEXT) | instid1(VALU_DEP_2)
	v_and_b32_e32 v133, 0x80, v133
	v_or_b32_e32 v18, v18, v134
	v_and_b32_e32 v144, 7, v134
	s_delay_alu instid0(VALU_DEP_2) | instskip(SKIP_1) | instid1(VALU_DEP_1)
	v_cmp_ne_u32_e32 vcc_lo, 0, v18
	v_and_b32_e32 v135, 0xf8, v135
	v_or3_b32 v133, v135, v133, v144
	s_delay_alu instid0(VALU_DEP_1)
	v_cndmask_b32_e32 v18, 0, v133, vcc_lo
.LBB4_859:                              ;   in Loop: Header=BB4_634 Depth=2
	s_or_b32 exec_lo, exec_lo, s18
.LBB4_860:                              ;   in Loop: Header=BB4_634 Depth=2
	s_delay_alu instid0(SALU_CYCLE_1) | instskip(SKIP_3) | instid1(VALU_DEP_1)
	s_or_b32 exec_lo, exec_lo, s8
	v_lshrrev_b32_e32 v134, 24, v19
	s_mov_b32 s7, 0
	s_mov_b32 s18, exec_lo
                                        ; implicit-def: $sgpr8
	v_cmpx_lt_i16_e64 0x7f, v134
	s_xor_b32 s18, exec_lo, s18
	s_cbranch_execnz .LBB4_982
; %bb.861:                              ;   in Loop: Header=BB4_634 Depth=2
	s_or_saveexec_b32 s18, s18
	v_mov_b32_e32 v133, s8
	s_xor_b32 exec_lo, exec_lo, s18
	s_cbranch_execnz .LBB4_985
.LBB4_862:                              ;   in Loop: Header=BB4_634 Depth=2
	s_or_b32 exec_lo, exec_lo, s18
	s_and_saveexec_b32 s8, s7
	s_cbranch_execz .LBB4_864
.LBB4_863:                              ;   in Loop: Header=BB4_634 Depth=2
	v_bfe_u32 v133, v19, 24, 3
	s_delay_alu instid0(VALU_DEP_1) | instskip(NEXT) | instid1(VALU_DEP_1)
	v_clz_i32_u32_e32 v135, v133
	v_min_u32_e32 v135, 32, v135
	s_delay_alu instid0(VALU_DEP_1) | instskip(SKIP_1) | instid1(VALU_DEP_2)
	v_subrev_nc_u32_e32 v144, 28, v135
	v_sub_nc_u32_e32 v135, 29, v135
	v_lshlrev_b32_e32 v134, v144, v134
	v_bfe_u32 v144, v19, 27, 4
	v_and_b32_e32 v19, 0x80000000, v19
	s_delay_alu instid0(VALU_DEP_2) | instskip(NEXT) | instid1(VALU_DEP_4)
	v_cmp_eq_u32_e32 vcc_lo, 0, v144
	v_dual_cndmask_b32 v135, v144, v135 :: v_dual_and_b32 v134, 7, v134
	s_delay_alu instid0(VALU_DEP_1) | instskip(NEXT) | instid1(VALU_DEP_2)
	v_cndmask_b32_e32 v133, v133, v134, vcc_lo
	v_lshl_add_u32 v134, v135, 23, 0x3b800000
	s_delay_alu instid0(VALU_DEP_2) | instskip(NEXT) | instid1(VALU_DEP_1)
	v_lshlrev_b32_e32 v133, 20, v133
	v_or3_b32 v133, v19, v134, v133
.LBB4_864:                              ;   in Loop: Header=BB4_634 Depth=2
	s_or_b32 exec_lo, exec_lo, s8
	v_lshrrev_b32_e32 v19, 24, v87
	s_mov_b32 s7, 0
	s_mov_b32 s18, exec_lo
                                        ; implicit-def: $sgpr8
	s_delay_alu instid0(VALU_DEP_1)
	v_cmpx_lt_i16_e32 0x7f, v19
	s_xor_b32 s18, exec_lo, s18
	s_cbranch_execnz .LBB4_986
; %bb.865:                              ;   in Loop: Header=BB4_634 Depth=2
	s_or_saveexec_b32 s18, s18
	v_mov_b32_e32 v134, s8
	s_xor_b32 exec_lo, exec_lo, s18
	s_cbranch_execnz .LBB4_989
.LBB4_866:                              ;   in Loop: Header=BB4_634 Depth=2
	s_or_b32 exec_lo, exec_lo, s18
	s_and_saveexec_b32 s8, s7
	s_cbranch_execz .LBB4_868
.LBB4_867:                              ;   in Loop: Header=BB4_634 Depth=2
	v_bfe_u32 v134, v87, 24, 3
	s_delay_alu instid0(VALU_DEP_1) | instskip(NEXT) | instid1(VALU_DEP_1)
	v_clz_i32_u32_e32 v135, v134
	v_min_u32_e32 v135, 32, v135
	s_delay_alu instid0(VALU_DEP_1) | instskip(SKIP_1) | instid1(VALU_DEP_2)
	v_subrev_nc_u32_e32 v144, 28, v135
	v_sub_nc_u32_e32 v135, 29, v135
	v_lshlrev_b32_e32 v19, v144, v19
	v_bfe_u32 v144, v87, 27, 4
	v_and_b32_e32 v87, 0x80000000, v87
	s_delay_alu instid0(VALU_DEP_3) | instskip(NEXT) | instid1(VALU_DEP_3)
	v_and_b32_e32 v19, 7, v19
	v_cmp_eq_u32_e32 vcc_lo, 0, v144
	v_cndmask_b32_e32 v135, v144, v135, vcc_lo
	s_delay_alu instid0(VALU_DEP_3) | instskip(NEXT) | instid1(VALU_DEP_2)
	v_cndmask_b32_e32 v19, v134, v19, vcc_lo
	v_lshl_add_u32 v134, v135, 23, 0x3b800000
	s_delay_alu instid0(VALU_DEP_2) | instskip(NEXT) | instid1(VALU_DEP_1)
	v_lshlrev_b32_e32 v19, 20, v19
	v_or3_b32 v134, v87, v134, v19
.LBB4_868:                              ;   in Loop: Header=BB4_634 Depth=2
	s_or_b32 exec_lo, exec_lo, s8
	s_delay_alu instid0(VALU_DEP_1) | instskip(NEXT) | instid1(VALU_DEP_1)
	v_add_f32_e32 v19, v133, v134
	v_and_b32_e32 v87, 0x7f800000, v19
	s_delay_alu instid0(VALU_DEP_1)
	v_cmp_ne_u32_e32 vcc_lo, 0x7f800000, v87
	v_mov_b32_e32 v87, 0x8000
	s_and_saveexec_b32 s8, vcc_lo
	s_cbranch_execz .LBB4_876
; %bb.869:                              ;   in Loop: Header=BB4_634 Depth=2
	v_mov_b32_e32 v87, 0
	s_mov_b32 s18, exec_lo
	v_cmpx_ne_u32_e32 0, v19
	s_cbranch_execz .LBB4_875
; %bb.870:                              ;   in Loop: Header=BB4_634 Depth=2
	v_bfe_u32 v87, v19, 23, 8
	s_delay_alu instid0(VALU_DEP_1) | instskip(SKIP_1) | instid1(VALU_DEP_2)
	v_sub_nc_u32_e32 v134, 0x78, v87
	v_cmp_gt_u32_e32 vcc_lo, 0x79, v87
	v_dual_cndmask_b32 v134, 0, v134 :: v_dual_and_b32 v133, 0x7fffff, v19
	s_delay_alu instid0(VALU_DEP_1) | instskip(SKIP_2) | instid1(VALU_DEP_4)
	v_or_b32_e32 v135, 0x800000, v133
	v_cmp_eq_u32_e32 vcc_lo, 0, v87
	v_add_nc_u32_e32 v87, 0xffffff89, v87
	v_cndmask_b32_e64 v134, v134, 0x77, vcc_lo
	s_delay_alu instid0(VALU_DEP_2) | instskip(SKIP_1) | instid1(VALU_DEP_3)
	v_cndmask_b32_e64 v87, v87, 0xffffff8a, vcc_lo
	v_cndmask_b32_e32 v133, v135, v133, vcc_lo
	v_lshl_add_u32 v135, 0x100000, v134, -1
	v_lshlrev_b32_e64 v146, v134, 0x80000
	s_delay_alu instid0(VALU_DEP_3) | instskip(SKIP_1) | instid1(VALU_DEP_4)
	v_lshrrev_b32_e32 v144, v134, v133
	v_add_nc_u32_e32 v134, v134, v87
	v_and_b32_e32 v133, v135, v133
	s_delay_alu instid0(VALU_DEP_3) | instskip(NEXT) | instid1(VALU_DEP_2)
	v_bfe_u32 v145, v144, 20, 1
	v_cmp_eq_u32_e64 s7, v133, v146
	s_delay_alu instid0(VALU_DEP_2) | instskip(NEXT) | instid1(VALU_DEP_1)
	v_add_nc_u32_e32 v135, -1, v145
	v_cndmask_b32_e64 v133, 0, v135, s7
	v_lshrrev_b32_e32 v135, 23, v144
	s_mov_b32 s7, exec_lo
	s_delay_alu instid0(VALU_DEP_2) | instskip(NEXT) | instid1(VALU_DEP_2)
	v_add_nc_u32_e32 v133, v133, v144
	v_xor_b32_e32 v135, 1, v135
	s_delay_alu instid0(VALU_DEP_2) | instskip(NEXT) | instid1(VALU_DEP_1)
	v_and_b32_e32 v87, 0xfffff, v133
	v_add_nc_u32_e32 v133, v87, v144
                                        ; implicit-def: $vgpr87
	s_delay_alu instid0(VALU_DEP_3)
	v_cmpx_ne_u32_e64 v134, v135
	s_xor_b32 s7, exec_lo, s7
; %bb.871:                              ;   in Loop: Header=BB4_634 Depth=2
	s_delay_alu instid0(VALU_DEP_2) | instskip(SKIP_2) | instid1(VALU_DEP_2)
	v_cmp_lt_u32_e32 vcc_lo, 0xffffff, v133
	v_sub_nc_u32_e32 v87, v134, v135
	v_cndmask_b32_e64 v134, 0, 1, vcc_lo
	v_add_co_ci_u32_e32 v87, vcc_lo, 0, v87, vcc_lo
	s_delay_alu instid0(VALU_DEP_2)
	v_lshrrev_b32_e32 v133, v134, v133
; %bb.872:                              ;   in Loop: Header=BB4_634 Depth=2
	s_and_not1_saveexec_b32 s7, s7
; %bb.873:                              ;   in Loop: Header=BB4_634 Depth=2
	s_delay_alu instid0(VALU_DEP_1)
	v_bfe_u32 v87, v133, 23, 1
; %bb.874:                              ;   in Loop: Header=BB4_634 Depth=2
	s_or_b32 exec_lo, exec_lo, s7
	v_lshrrev_b32_e32 v133, 20, v133
	s_delay_alu instid0(VALU_DEP_2) | instskip(SKIP_2) | instid1(VALU_DEP_2)
	v_cmp_gt_i32_e32 vcc_lo, 16, v87
	v_min_i32_e32 v134, 15, v87
	v_lshrrev_b32_e32 v19, 24, v19
	v_dual_cndmask_b32 v133, 7, v133 :: v_dual_lshlrev_b32 v134, 3, v134
	s_delay_alu instid0(VALU_DEP_2) | instskip(NEXT) | instid1(VALU_DEP_2)
	v_and_b32_e32 v19, 0x80, v19
	v_or_b32_e32 v87, v87, v133
	v_and_b32_e32 v135, 7, v133
	s_delay_alu instid0(VALU_DEP_2) | instskip(SKIP_1) | instid1(VALU_DEP_1)
	v_cmp_ne_u32_e32 vcc_lo, 0, v87
	v_and_b32_e32 v134, 0xf8, v134
	v_or3_b32 v19, v19, v134, v135
	s_delay_alu instid0(VALU_DEP_1) | instskip(NEXT) | instid1(VALU_DEP_1)
	v_lshlrev_b32_e32 v19, 8, v19
	v_cndmask_b32_e32 v87, 0, v19, vcc_lo
.LBB4_875:                              ;   in Loop: Header=BB4_634 Depth=2
	s_or_b32 exec_lo, exec_lo, s18
.LBB4_876:                              ;   in Loop: Header=BB4_634 Depth=2
	s_delay_alu instid0(SALU_CYCLE_1)
	s_or_b32 exec_lo, exec_lo, s8
	v_cmp_lt_u32_e32 vcc_lo, 7, v132
	v_and_or_b32 v19, 0xff, v81, v96
	v_or_b32_e32 v18, v87, v18
	v_cndmask_b32_e64 v133, 0, 1, vcc_lo
	;;#ASMSTART
	;;#ASMEND
	s_delay_alu instid0(VALU_DEP_1) | instskip(NEXT) | instid1(VALU_DEP_3)
	v_cmp_ne_u32_e64 s7, 0, v133
	v_lshl_or_b32 v18, v18, 16, v19
	s_delay_alu instid0(VALU_DEP_2)
	s_cmp_lg_u32 s7, exec_lo
	s_mov_b32 s7, -1
	s_cbranch_scc0 .LBB4_892
; %bb.877:                              ;   in Loop: Header=BB4_634 Depth=2
	s_mov_b32 s8, exec_lo
	flat_store_b8 v[70:71], v20
	v_cmpx_ne_u32_e32 1, v132
	s_cbranch_execz .LBB4_879
; %bb.878:                              ;   in Loop: Header=BB4_634 Depth=2
	flat_store_b8 v[70:71], v82 offset:1
.LBB4_879:                              ;   in Loop: Header=BB4_634 Depth=2
	s_or_b32 exec_lo, exec_lo, s8
	s_delay_alu instid0(SALU_CYCLE_1)
	s_mov_b32 s8, exec_lo
	v_cmpx_lt_u32_e32 2, v132
	s_cbranch_execz .LBB4_881
; %bb.880:                              ;   in Loop: Header=BB4_634 Depth=2
	flat_store_b8 v[70:71], v97 offset:2
.LBB4_881:                              ;   in Loop: Header=BB4_634 Depth=2
	s_or_b32 exec_lo, exec_lo, s8
	s_delay_alu instid0(SALU_CYCLE_1)
	s_mov_b32 s8, exec_lo
	v_cmpx_lt_u32_e32 3, v132
	;; [unrolled: 8-line block ×4, first 2 shown]
	s_cbranch_execz .LBB4_887
; %bb.886:                              ;   in Loop: Header=BB4_634 Depth=2
	v_lshrrev_b32_e32 v19, 8, v96
	flat_store_b8 v[70:71], v19 offset:5
.LBB4_887:                              ;   in Loop: Header=BB4_634 Depth=2
	s_or_b32 exec_lo, exec_lo, s8
	s_delay_alu instid0(SALU_CYCLE_1)
	s_mov_b32 s8, exec_lo
	v_cmpx_lt_u32_e32 6, v132
	s_cbranch_execz .LBB4_889
; %bb.888:                              ;   in Loop: Header=BB4_634 Depth=2
	flat_store_d16_hi_b8 v[70:71], v18 offset:6
.LBB4_889:                              ;   in Loop: Header=BB4_634 Depth=2
	s_or_b32 exec_lo, exec_lo, s8
	s_and_saveexec_b32 s7, vcc_lo
	s_cbranch_execz .LBB4_891
; %bb.890:                              ;   in Loop: Header=BB4_634 Depth=2
	v_lshrrev_b32_e32 v19, 24, v18
	flat_store_b8 v[70:71], v19 offset:7
.LBB4_891:                              ;   in Loop: Header=BB4_634 Depth=2
	s_or_b32 exec_lo, exec_lo, s7
	s_mov_b32 s7, 0
.LBB4_892:                              ;   in Loop: Header=BB4_634 Depth=2
	s_delay_alu instid0(SALU_CYCLE_1)
	s_and_b32 vcc_lo, exec_lo, s7
	s_cbranch_vccz .LBB4_633
; %bb.893:                              ;   in Loop: Header=BB4_634 Depth=2
	v_perm_b32 v17, v17, v97, 0x6050400
	v_lshlrev_b32_e32 v19, 8, v82
	s_delay_alu instid0(VALU_DEP_2) | instskip(NEXT) | instid1(VALU_DEP_1)
	v_perm_b32 v17, v17, v20, 0x5040c00
	v_and_or_b32 v17, 0xff00, v19, v17
	global_store_b64 v[70:71], v[17:18], off
	s_branch .LBB4_633
.LBB4_894:                              ;   in Loop: Header=BB4_634 Depth=2
	s_mov_b32 s7, -1
	s_mov_b32 s19, exec_lo
                                        ; implicit-def: $sgpr8
	v_cmpx_eq_u16_e32 0x80, v82
; %bb.895:                              ;   in Loop: Header=BB4_634 Depth=2
	s_mov_b32 s8, 0x7f800001
	s_xor_b32 s7, exec_lo, -1
; %bb.896:                              ;   in Loop: Header=BB4_634 Depth=2
	s_or_b32 exec_lo, exec_lo, s19
	s_delay_alu instid0(SALU_CYCLE_1)
	s_and_b32 s7, s7, exec_lo
                                        ; implicit-def: $vgpr82
	s_or_saveexec_b32 s18, s18
	v_mov_b32_e32 v20, s8
	s_xor_b32 exec_lo, exec_lo, s18
	s_cbranch_execz .LBB4_654
.LBB4_897:                              ;   in Loop: Header=BB4_634 Depth=2
	v_cmp_ne_u16_e32 vcc_lo, 0, v82
	v_mov_b32_e32 v20, 0
	s_and_not1_b32 s7, s7, exec_lo
	s_and_b32 s8, vcc_lo, exec_lo
	s_delay_alu instid0(SALU_CYCLE_1)
	s_or_b32 s7, s7, s8
	s_or_b32 exec_lo, exec_lo, s18
	s_and_saveexec_b32 s8, s7
	s_cbranch_execnz .LBB4_655
	s_branch .LBB4_656
.LBB4_898:                              ;   in Loop: Header=BB4_634 Depth=2
	s_mov_b32 s7, -1
	s_mov_b32 s19, exec_lo
                                        ; implicit-def: $sgpr8
	v_cmpx_eq_u16_e32 0x80, v82
; %bb.899:                              ;   in Loop: Header=BB4_634 Depth=2
	s_mov_b32 s8, 0x7f800001
	s_xor_b32 s7, exec_lo, -1
; %bb.900:                              ;   in Loop: Header=BB4_634 Depth=2
	s_or_b32 exec_lo, exec_lo, s19
	s_delay_alu instid0(SALU_CYCLE_1)
	s_and_b32 s7, s7, exec_lo
	s_or_saveexec_b32 s18, s18
	v_mov_b32_e32 v96, s8
	s_xor_b32 exec_lo, exec_lo, s18
	s_cbranch_execz .LBB4_666
.LBB4_901:                              ;   in Loop: Header=BB4_634 Depth=2
	v_cmp_ne_u16_e32 vcc_lo, 0, v82
	v_mov_b32_e32 v96, 0
	s_and_not1_b32 s7, s7, exec_lo
	s_and_b32 s8, vcc_lo, exec_lo
	s_delay_alu instid0(SALU_CYCLE_1)
	s_or_b32 s7, s7, s8
	s_or_b32 exec_lo, exec_lo, s18
	s_and_saveexec_b32 s8, s7
	s_cbranch_execnz .LBB4_667
	s_branch .LBB4_668
.LBB4_902:                              ;   in Loop: Header=BB4_634 Depth=2
	s_mov_b32 s7, -1
	s_mov_b32 s19, exec_lo
                                        ; implicit-def: $sgpr8
	v_cmpx_eq_u16_e64 0x80, v134
; %bb.903:                              ;   in Loop: Header=BB4_634 Depth=2
	s_mov_b32 s8, 0x7f800001
	s_xor_b32 s7, exec_lo, -1
; %bb.904:                              ;   in Loop: Header=BB4_634 Depth=2
	s_or_b32 exec_lo, exec_lo, s19
	s_delay_alu instid0(SALU_CYCLE_1)
	s_and_b32 s7, s7, exec_lo
                                        ; implicit-def: $vgpr134
	s_or_saveexec_b32 s18, s18
	v_mov_b32_e32 v97, s8
	s_xor_b32 exec_lo, exec_lo, s18
	s_cbranch_execz .LBB4_678
.LBB4_905:                              ;   in Loop: Header=BB4_634 Depth=2
	v_cmp_ne_u16_e64 vcc_lo, 0, v134
	v_mov_b32_e32 v97, 0
	s_and_not1_b32 s7, s7, exec_lo
	s_delay_alu instid0(VALU_DEP_2) | instskip(NEXT) | instid1(SALU_CYCLE_1)
	s_and_b32 s8, vcc_lo, exec_lo
	s_or_b32 s7, s7, s8
	s_or_b32 exec_lo, exec_lo, s18
	s_and_saveexec_b32 s8, s7
	s_cbranch_execnz .LBB4_679
	s_branch .LBB4_680
.LBB4_906:                              ;   in Loop: Header=BB4_634 Depth=2
	s_mov_b32 s7, -1
	s_mov_b32 s19, exec_lo
                                        ; implicit-def: $sgpr8
	v_cmpx_eq_u16_e32 0x80, v96
; %bb.907:                              ;   in Loop: Header=BB4_634 Depth=2
	s_mov_b32 s8, 0x7f800001
	s_xor_b32 s7, exec_lo, -1
; %bb.908:                              ;   in Loop: Header=BB4_634 Depth=2
	s_or_b32 exec_lo, exec_lo, s19
	s_delay_alu instid0(SALU_CYCLE_1)
	s_and_b32 s7, s7, exec_lo
	s_or_saveexec_b32 s18, s18
	v_mov_b32_e32 v134, s8
	s_xor_b32 exec_lo, exec_lo, s18
	s_cbranch_execz .LBB4_690
.LBB4_909:                              ;   in Loop: Header=BB4_634 Depth=2
	v_cmp_ne_u16_e32 vcc_lo, 0, v96
	v_mov_b32_e32 v134, 0
	s_and_not1_b32 s7, s7, exec_lo
	s_and_b32 s8, vcc_lo, exec_lo
	s_delay_alu instid0(SALU_CYCLE_1)
	s_or_b32 s7, s7, s8
	s_or_b32 exec_lo, exec_lo, s18
	s_and_saveexec_b32 s8, s7
	s_cbranch_execnz .LBB4_691
	s_branch .LBB4_692
.LBB4_910:                              ;   in Loop: Header=BB4_634 Depth=2
	s_mov_b32 s7, -1
	s_mov_b32 s19, exec_lo
                                        ; implicit-def: $sgpr8
	v_cmpx_eq_u16_e32 0x80, v81
; %bb.911:                              ;   in Loop: Header=BB4_634 Depth=2
	s_mov_b32 s8, 0x7f800001
	s_xor_b32 s7, exec_lo, -1
; %bb.912:                              ;   in Loop: Header=BB4_634 Depth=2
	s_or_b32 exec_lo, exec_lo, s19
	s_delay_alu instid0(SALU_CYCLE_1)
	s_and_b32 s7, s7, exec_lo
                                        ; implicit-def: $vgpr81
	s_or_saveexec_b32 s18, s18
	v_mov_b32_e32 v18, s8
	s_xor_b32 exec_lo, exec_lo, s18
	s_cbranch_execz .LBB4_702
.LBB4_913:                              ;   in Loop: Header=BB4_634 Depth=2
	v_cmp_ne_u16_e32 vcc_lo, 0, v81
	v_mov_b32_e32 v18, 0
	s_and_not1_b32 s7, s7, exec_lo
	s_and_b32 s8, vcc_lo, exec_lo
	s_delay_alu instid0(SALU_CYCLE_1)
	s_or_b32 s7, s7, s8
	s_or_b32 exec_lo, exec_lo, s18
	s_and_saveexec_b32 s8, s7
	s_cbranch_execnz .LBB4_703
	s_branch .LBB4_704
.LBB4_914:                              ;   in Loop: Header=BB4_634 Depth=2
	s_mov_b32 s7, -1
	s_mov_b32 s19, exec_lo
                                        ; implicit-def: $sgpr8
	v_cmpx_eq_u16_e32 0x80, v18
; %bb.915:                              ;   in Loop: Header=BB4_634 Depth=2
	s_mov_b32 s8, 0x7f800001
	s_xor_b32 s7, exec_lo, -1
; %bb.916:                              ;   in Loop: Header=BB4_634 Depth=2
	s_or_b32 exec_lo, exec_lo, s19
	s_delay_alu instid0(SALU_CYCLE_1)
	s_and_b32 s7, s7, exec_lo
	s_or_saveexec_b32 s18, s18
	v_mov_b32_e32 v133, s8
	s_xor_b32 exec_lo, exec_lo, s18
	s_cbranch_execz .LBB4_714
.LBB4_917:                              ;   in Loop: Header=BB4_634 Depth=2
	v_cmp_ne_u16_e32 vcc_lo, 0, v18
	v_mov_b32_e32 v133, 0
	s_and_not1_b32 s7, s7, exec_lo
	s_and_b32 s8, vcc_lo, exec_lo
	s_delay_alu instid0(SALU_CYCLE_1)
	s_or_b32 s7, s7, s8
	s_or_b32 exec_lo, exec_lo, s18
	s_and_saveexec_b32 s8, s7
	s_cbranch_execnz .LBB4_715
	s_branch .LBB4_716
.LBB4_918:                              ;   in Loop: Header=BB4_634 Depth=2
	s_mov_b32 s7, -1
	s_mov_b32 s19, exec_lo
                                        ; implicit-def: $sgpr8
	v_cmpx_eq_u16_e64 0x80, v135
; %bb.919:                              ;   in Loop: Header=BB4_634 Depth=2
	s_mov_b32 s8, 0x7f800001
	s_xor_b32 s7, exec_lo, -1
; %bb.920:                              ;   in Loop: Header=BB4_634 Depth=2
	s_or_b32 exec_lo, exec_lo, s19
	s_delay_alu instid0(SALU_CYCLE_1)
	s_and_b32 s7, s7, exec_lo
                                        ; implicit-def: $vgpr135
	s_or_saveexec_b32 s18, s18
	v_mov_b32_e32 v134, s8
	s_xor_b32 exec_lo, exec_lo, s18
	s_cbranch_execz .LBB4_726
.LBB4_921:                              ;   in Loop: Header=BB4_634 Depth=2
	v_cmp_ne_u16_e64 vcc_lo, 0, v135
	v_mov_b32_e32 v134, 0
	s_and_not1_b32 s7, s7, exec_lo
	s_delay_alu instid0(VALU_DEP_2) | instskip(NEXT) | instid1(SALU_CYCLE_1)
	s_and_b32 s8, vcc_lo, exec_lo
	s_or_b32 s7, s7, s8
	s_or_b32 exec_lo, exec_lo, s18
	s_and_saveexec_b32 s8, s7
	s_cbranch_execnz .LBB4_727
	s_branch .LBB4_728
.LBB4_922:                              ;   in Loop: Header=BB4_634 Depth=2
	s_mov_b32 s7, -1
	s_mov_b32 s19, exec_lo
                                        ; implicit-def: $sgpr8
	v_cmpx_eq_u16_e64 0x80, v134
; %bb.923:                              ;   in Loop: Header=BB4_634 Depth=2
	s_mov_b32 s8, 0x7f800001
	s_xor_b32 s7, exec_lo, -1
; %bb.924:                              ;   in Loop: Header=BB4_634 Depth=2
	s_or_b32 exec_lo, exec_lo, s19
	s_delay_alu instid0(SALU_CYCLE_1)
	s_and_b32 s7, s7, exec_lo
	s_or_saveexec_b32 s18, s18
	v_mov_b32_e32 v135, s8
	s_xor_b32 exec_lo, exec_lo, s18
	s_cbranch_execz .LBB4_738
.LBB4_925:                              ;   in Loop: Header=BB4_634 Depth=2
	v_cmp_ne_u16_e64 vcc_lo, 0, v134
	v_mov_b32_e32 v135, 0
	s_and_not1_b32 s7, s7, exec_lo
	s_delay_alu instid0(VALU_DEP_2) | instskip(NEXT) | instid1(SALU_CYCLE_1)
	s_and_b32 s8, vcc_lo, exec_lo
	s_or_b32 s7, s7, s8
	s_or_b32 exec_lo, exec_lo, s18
	s_and_saveexec_b32 s8, s7
	s_cbranch_execnz .LBB4_739
	s_branch .LBB4_740
.LBB4_926:                              ;   in Loop: Header=BB4_634 Depth=2
	s_mov_b32 s7, -1
	s_mov_b32 s19, exec_lo
                                        ; implicit-def: $sgpr8
	v_cmpx_eq_u16_e64 0x80, v135
; %bb.927:                              ;   in Loop: Header=BB4_634 Depth=2
	s_mov_b32 s8, 0x7f800001
	s_xor_b32 s7, exec_lo, -1
; %bb.928:                              ;   in Loop: Header=BB4_634 Depth=2
	s_or_b32 exec_lo, exec_lo, s19
	s_delay_alu instid0(SALU_CYCLE_1)
	s_and_b32 s7, s7, exec_lo
                                        ; implicit-def: $vgpr135
	s_or_saveexec_b32 s18, s18
	v_mov_b32_e32 v134, s8
	s_xor_b32 exec_lo, exec_lo, s18
	s_cbranch_execz .LBB4_750
.LBB4_929:                              ;   in Loop: Header=BB4_634 Depth=2
	v_cmp_ne_u16_e64 vcc_lo, 0, v135
	v_mov_b32_e32 v134, 0
	s_and_not1_b32 s7, s7, exec_lo
	s_delay_alu instid0(VALU_DEP_2) | instskip(NEXT) | instid1(SALU_CYCLE_1)
	s_and_b32 s8, vcc_lo, exec_lo
	s_or_b32 s7, s7, s8
	s_or_b32 exec_lo, exec_lo, s18
	s_and_saveexec_b32 s8, s7
	s_cbranch_execnz .LBB4_751
	s_branch .LBB4_752
.LBB4_930:                              ;   in Loop: Header=BB4_634 Depth=2
	s_mov_b32 s7, -1
	s_mov_b32 s19, exec_lo
                                        ; implicit-def: $sgpr8
	v_cmpx_eq_u16_e64 0x80, v144
; %bb.931:                              ;   in Loop: Header=BB4_634 Depth=2
	s_mov_b32 s8, 0x7f800001
	s_xor_b32 s7, exec_lo, -1
; %bb.932:                              ;   in Loop: Header=BB4_634 Depth=2
	s_or_b32 exec_lo, exec_lo, s19
	s_delay_alu instid0(SALU_CYCLE_1)
	s_and_b32 s7, s7, exec_lo
                                        ; implicit-def: $vgpr144
	s_or_saveexec_b32 s18, s18
	v_mov_b32_e32 v135, s8
	s_xor_b32 exec_lo, exec_lo, s18
	s_cbranch_execz .LBB4_754
.LBB4_933:                              ;   in Loop: Header=BB4_634 Depth=2
	v_cmp_ne_u16_e64 vcc_lo, 0, v144
	v_mov_b32_e32 v135, 0
	s_and_not1_b32 s7, s7, exec_lo
	s_delay_alu instid0(VALU_DEP_2) | instskip(NEXT) | instid1(SALU_CYCLE_1)
	s_and_b32 s8, vcc_lo, exec_lo
	s_or_b32 s7, s7, s8
	s_or_b32 exec_lo, exec_lo, s18
	s_and_saveexec_b32 s8, s7
	s_cbranch_execnz .LBB4_755
	s_branch .LBB4_756
.LBB4_934:                              ;   in Loop: Header=BB4_634 Depth=2
	s_mov_b32 s7, -1
	s_mov_b32 s19, exec_lo
                                        ; implicit-def: $sgpr8
	v_cmpx_eq_u16_e64 0x80, v135
; %bb.935:                              ;   in Loop: Header=BB4_634 Depth=2
	s_mov_b32 s8, 0x7f800001
	s_xor_b32 s7, exec_lo, -1
; %bb.936:                              ;   in Loop: Header=BB4_634 Depth=2
	s_or_b32 exec_lo, exec_lo, s19
	s_delay_alu instid0(SALU_CYCLE_1)
	s_and_b32 s7, s7, exec_lo
	s_or_saveexec_b32 s18, s18
	v_mov_b32_e32 v134, s8
	s_xor_b32 exec_lo, exec_lo, s18
	s_cbranch_execz .LBB4_766
.LBB4_937:                              ;   in Loop: Header=BB4_634 Depth=2
	v_cmp_ne_u16_e64 vcc_lo, 0, v135
	v_mov_b32_e32 v134, 0
	s_and_not1_b32 s7, s7, exec_lo
	s_delay_alu instid0(VALU_DEP_2) | instskip(NEXT) | instid1(SALU_CYCLE_1)
	s_and_b32 s8, vcc_lo, exec_lo
	s_or_b32 s7, s7, s8
	s_or_b32 exec_lo, exec_lo, s18
	s_and_saveexec_b32 s8, s7
	s_cbranch_execnz .LBB4_767
	s_branch .LBB4_768
.LBB4_938:                              ;   in Loop: Header=BB4_634 Depth=2
	s_mov_b32 s7, -1
	s_mov_b32 s19, exec_lo
                                        ; implicit-def: $sgpr8
	v_cmpx_eq_u16_e64 0x80, v144
; %bb.939:                              ;   in Loop: Header=BB4_634 Depth=2
	s_mov_b32 s8, 0x7f800001
	s_xor_b32 s7, exec_lo, -1
; %bb.940:                              ;   in Loop: Header=BB4_634 Depth=2
	s_or_b32 exec_lo, exec_lo, s19
	s_delay_alu instid0(SALU_CYCLE_1)
	s_and_b32 s7, s7, exec_lo
                                        ; implicit-def: $vgpr144
	s_or_saveexec_b32 s18, s18
	v_mov_b32_e32 v135, s8
	s_xor_b32 exec_lo, exec_lo, s18
	s_cbranch_execz .LBB4_770
.LBB4_941:                              ;   in Loop: Header=BB4_634 Depth=2
	v_cmp_ne_u16_e64 vcc_lo, 0, v144
	v_mov_b32_e32 v135, 0
	s_and_not1_b32 s7, s7, exec_lo
	s_delay_alu instid0(VALU_DEP_2) | instskip(NEXT) | instid1(SALU_CYCLE_1)
	s_and_b32 s8, vcc_lo, exec_lo
	s_or_b32 s7, s7, s8
	s_or_b32 exec_lo, exec_lo, s18
	s_and_saveexec_b32 s8, s7
	s_cbranch_execnz .LBB4_771
	s_branch .LBB4_772
.LBB4_942:                              ;   in Loop: Header=BB4_634 Depth=2
	s_mov_b32 s7, -1
	s_mov_b32 s19, exec_lo
                                        ; implicit-def: $sgpr8
	v_cmpx_eq_u16_e64 0x80, v144
; %bb.943:                              ;   in Loop: Header=BB4_634 Depth=2
	s_mov_b32 s8, 0x7f800001
	s_xor_b32 s7, exec_lo, -1
; %bb.944:                              ;   in Loop: Header=BB4_634 Depth=2
	s_or_b32 exec_lo, exec_lo, s19
	s_delay_alu instid0(SALU_CYCLE_1)
	s_and_b32 s7, s7, exec_lo
                                        ; implicit-def: $vgpr144
	s_or_saveexec_b32 s18, s18
	v_mov_b32_e32 v134, s8
	s_xor_b32 exec_lo, exec_lo, s18
	s_cbranch_execz .LBB4_782
.LBB4_945:                              ;   in Loop: Header=BB4_634 Depth=2
	v_cmp_ne_u16_e64 vcc_lo, 0, v144
	v_mov_b32_e32 v134, 0
	s_and_not1_b32 s7, s7, exec_lo
	s_delay_alu instid0(VALU_DEP_2) | instskip(NEXT) | instid1(SALU_CYCLE_1)
	s_and_b32 s8, vcc_lo, exec_lo
	s_or_b32 s7, s7, s8
	s_or_b32 exec_lo, exec_lo, s18
	s_and_saveexec_b32 s8, s7
	s_cbranch_execnz .LBB4_783
	s_branch .LBB4_784
.LBB4_946:                              ;   in Loop: Header=BB4_634 Depth=2
	s_mov_b32 s7, -1
	s_mov_b32 s19, exec_lo
                                        ; implicit-def: $sgpr8
	v_cmpx_eq_u16_e64 0x80, v144
; %bb.947:                              ;   in Loop: Header=BB4_634 Depth=2
	s_mov_b32 s8, 0x7f800001
	s_xor_b32 s7, exec_lo, -1
; %bb.948:                              ;   in Loop: Header=BB4_634 Depth=2
	s_or_b32 exec_lo, exec_lo, s19
	s_delay_alu instid0(SALU_CYCLE_1)
	s_and_b32 s7, s7, exec_lo
                                        ; implicit-def: $vgpr144
	s_or_saveexec_b32 s18, s18
	v_mov_b32_e32 v135, s8
	s_xor_b32 exec_lo, exec_lo, s18
	s_cbranch_execz .LBB4_786
.LBB4_949:                              ;   in Loop: Header=BB4_634 Depth=2
	v_cmp_ne_u16_e64 vcc_lo, 0, v144
	v_mov_b32_e32 v135, 0
	s_and_not1_b32 s7, s7, exec_lo
	s_delay_alu instid0(VALU_DEP_2) | instskip(NEXT) | instid1(SALU_CYCLE_1)
	s_and_b32 s8, vcc_lo, exec_lo
	s_or_b32 s7, s7, s8
	s_or_b32 exec_lo, exec_lo, s18
	s_and_saveexec_b32 s8, s7
	s_cbranch_execnz .LBB4_787
	s_branch .LBB4_788
.LBB4_950:                              ;   in Loop: Header=BB4_634 Depth=2
	s_mov_b32 s7, -1
	s_mov_b32 s19, exec_lo
                                        ; implicit-def: $sgpr8
	v_cmpx_eq_u16_e64 0x80, v135
; %bb.951:                              ;   in Loop: Header=BB4_634 Depth=2
	s_mov_b32 s8, 0x7f800001
	s_xor_b32 s7, exec_lo, -1
; %bb.952:                              ;   in Loop: Header=BB4_634 Depth=2
	s_or_b32 exec_lo, exec_lo, s19
	s_delay_alu instid0(SALU_CYCLE_1)
	s_and_b32 s7, s7, exec_lo
	s_or_saveexec_b32 s18, s18
	v_mov_b32_e32 v134, s8
	s_xor_b32 exec_lo, exec_lo, s18
	s_cbranch_execz .LBB4_798
.LBB4_953:                              ;   in Loop: Header=BB4_634 Depth=2
	v_cmp_ne_u16_e64 vcc_lo, 0, v135
	v_mov_b32_e32 v134, 0
	s_and_not1_b32 s7, s7, exec_lo
	s_delay_alu instid0(VALU_DEP_2) | instskip(NEXT) | instid1(SALU_CYCLE_1)
	s_and_b32 s8, vcc_lo, exec_lo
	s_or_b32 s7, s7, s8
	s_or_b32 exec_lo, exec_lo, s18
	s_and_saveexec_b32 s8, s7
	s_cbranch_execnz .LBB4_799
	s_branch .LBB4_800
.LBB4_954:                              ;   in Loop: Header=BB4_634 Depth=2
	s_mov_b32 s7, -1
	s_mov_b32 s19, exec_lo
                                        ; implicit-def: $sgpr8
	v_cmpx_eq_u16_e32 0x80, v17
; %bb.955:                              ;   in Loop: Header=BB4_634 Depth=2
	s_mov_b32 s8, 0x7f800001
	s_xor_b32 s7, exec_lo, -1
; %bb.956:                              ;   in Loop: Header=BB4_634 Depth=2
	s_or_b32 exec_lo, exec_lo, s19
	s_delay_alu instid0(SALU_CYCLE_1)
	s_and_b32 s7, s7, exec_lo
	s_or_saveexec_b32 s18, s18
	v_mov_b32_e32 v135, s8
	s_xor_b32 exec_lo, exec_lo, s18
	s_cbranch_execz .LBB4_802
.LBB4_957:                              ;   in Loop: Header=BB4_634 Depth=2
	v_cmp_ne_u16_e32 vcc_lo, 0, v17
	v_mov_b32_e32 v135, 0
	s_and_not1_b32 s7, s7, exec_lo
	s_and_b32 s8, vcc_lo, exec_lo
	s_delay_alu instid0(SALU_CYCLE_1)
	s_or_b32 s7, s7, s8
	s_or_b32 exec_lo, exec_lo, s18
	s_and_saveexec_b32 s8, s7
	s_cbranch_execnz .LBB4_803
	s_branch .LBB4_804
.LBB4_958:                              ;   in Loop: Header=BB4_634 Depth=2
	s_mov_b32 s7, -1
	s_mov_b32 s19, exec_lo
                                        ; implicit-def: $sgpr8
	v_cmpx_eq_u16_e32 0x80, v96
; %bb.959:                              ;   in Loop: Header=BB4_634 Depth=2
	s_mov_b32 s8, 0x7f800001
	s_xor_b32 s7, exec_lo, -1
; %bb.960:                              ;   in Loop: Header=BB4_634 Depth=2
	s_or_b32 exec_lo, exec_lo, s19
	s_delay_alu instid0(SALU_CYCLE_1)
	s_and_b32 s7, s7, exec_lo
                                        ; implicit-def: $vgpr96
	s_or_saveexec_b32 s18, s18
	v_mov_b32_e32 v134, s8
	s_xor_b32 exec_lo, exec_lo, s18
	s_cbranch_execz .LBB4_814
.LBB4_961:                              ;   in Loop: Header=BB4_634 Depth=2
	v_cmp_ne_u16_e32 vcc_lo, 0, v96
	v_mov_b32_e32 v134, 0
	s_and_not1_b32 s7, s7, exec_lo
	s_and_b32 s8, vcc_lo, exec_lo
	s_delay_alu instid0(SALU_CYCLE_1)
	s_or_b32 s7, s7, s8
	s_or_b32 exec_lo, exec_lo, s18
	s_and_saveexec_b32 s8, s7
	s_cbranch_execnz .LBB4_815
	s_branch .LBB4_816
.LBB4_962:                              ;   in Loop: Header=BB4_634 Depth=2
	s_mov_b32 s7, -1
	s_mov_b32 s19, exec_lo
                                        ; implicit-def: $sgpr8
	v_cmpx_eq_u16_e64 0x80, v135
; %bb.963:                              ;   in Loop: Header=BB4_634 Depth=2
	s_mov_b32 s8, 0x7f800001
	s_xor_b32 s7, exec_lo, -1
; %bb.964:                              ;   in Loop: Header=BB4_634 Depth=2
	s_or_b32 exec_lo, exec_lo, s19
	s_delay_alu instid0(SALU_CYCLE_1)
	s_and_b32 s7, s7, exec_lo
                                        ; implicit-def: $vgpr135
	s_or_saveexec_b32 s18, s18
	v_mov_b32_e32 v81, s8
	s_xor_b32 exec_lo, exec_lo, s18
	s_cbranch_execz .LBB4_818
.LBB4_965:                              ;   in Loop: Header=BB4_634 Depth=2
	v_cmp_ne_u16_e64 vcc_lo, 0, v135
	v_mov_b32_e32 v81, 0
	s_and_not1_b32 s7, s7, exec_lo
	s_delay_alu instid0(VALU_DEP_2) | instskip(NEXT) | instid1(SALU_CYCLE_1)
	s_and_b32 s8, vcc_lo, exec_lo
	s_or_b32 s7, s7, s8
	s_or_b32 exec_lo, exec_lo, s18
	s_and_saveexec_b32 s8, s7
	s_cbranch_execnz .LBB4_819
	s_branch .LBB4_820
.LBB4_966:                              ;   in Loop: Header=BB4_634 Depth=2
	s_mov_b32 s7, -1
	s_mov_b32 s19, exec_lo
                                        ; implicit-def: $sgpr8
	v_cmpx_eq_u16_e64 0x80, v134
; %bb.967:                              ;   in Loop: Header=BB4_634 Depth=2
	s_mov_b32 s8, 0x7f800001
	s_xor_b32 s7, exec_lo, -1
; %bb.968:                              ;   in Loop: Header=BB4_634 Depth=2
	s_or_b32 exec_lo, exec_lo, s19
	s_delay_alu instid0(SALU_CYCLE_1)
	s_and_b32 s7, s7, exec_lo
	s_or_saveexec_b32 s18, s18
	v_mov_b32_e32 v96, s8
	s_xor_b32 exec_lo, exec_lo, s18
	s_cbranch_execz .LBB4_830
.LBB4_969:                              ;   in Loop: Header=BB4_634 Depth=2
	v_cmp_ne_u16_e64 vcc_lo, 0, v134
	v_mov_b32_e32 v96, 0
	s_and_not1_b32 s7, s7, exec_lo
	s_delay_alu instid0(VALU_DEP_2) | instskip(NEXT) | instid1(SALU_CYCLE_1)
	s_and_b32 s8, vcc_lo, exec_lo
	s_or_b32 s7, s7, s8
	s_or_b32 exec_lo, exec_lo, s18
	s_and_saveexec_b32 s8, s7
	s_cbranch_execnz .LBB4_831
	s_branch .LBB4_832
.LBB4_970:                              ;   in Loop: Header=BB4_634 Depth=2
	s_mov_b32 s7, -1
	s_mov_b32 s19, exec_lo
                                        ; implicit-def: $sgpr8
	v_cmpx_eq_u16_e64 0x80, v134
; %bb.971:                              ;   in Loop: Header=BB4_634 Depth=2
	s_mov_b32 s8, 0x7f800001
	s_xor_b32 s7, exec_lo, -1
; %bb.972:                              ;   in Loop: Header=BB4_634 Depth=2
	s_or_b32 exec_lo, exec_lo, s19
	s_delay_alu instid0(SALU_CYCLE_1)
	s_and_b32 s7, s7, exec_lo
	s_or_saveexec_b32 s18, s18
	v_mov_b32_e32 v135, s8
	s_xor_b32 exec_lo, exec_lo, s18
	s_cbranch_execz .LBB4_834
.LBB4_973:                              ;   in Loop: Header=BB4_634 Depth=2
	v_cmp_ne_u16_e64 vcc_lo, 0, v134
	v_mov_b32_e32 v135, 0
	s_and_not1_b32 s7, s7, exec_lo
	s_delay_alu instid0(VALU_DEP_2) | instskip(NEXT) | instid1(SALU_CYCLE_1)
	s_and_b32 s8, vcc_lo, exec_lo
	s_or_b32 s7, s7, s8
	s_or_b32 exec_lo, exec_lo, s18
	s_and_saveexec_b32 s8, s7
	s_cbranch_execnz .LBB4_835
	s_branch .LBB4_836
.LBB4_974:                              ;   in Loop: Header=BB4_634 Depth=2
	s_mov_b32 s7, -1
	s_mov_b32 s19, exec_lo
                                        ; implicit-def: $sgpr8
	v_cmpx_eq_u16_e64 0x80, v144
; %bb.975:                              ;   in Loop: Header=BB4_634 Depth=2
	s_mov_b32 s8, 0x7f800001
	s_xor_b32 s7, exec_lo, -1
; %bb.976:                              ;   in Loop: Header=BB4_634 Depth=2
	s_or_b32 exec_lo, exec_lo, s19
	s_delay_alu instid0(SALU_CYCLE_1)
	s_and_b32 s7, s7, exec_lo
                                        ; implicit-def: $vgpr144
	s_or_saveexec_b32 s18, s18
	v_mov_b32_e32 v134, s8
	s_xor_b32 exec_lo, exec_lo, s18
	s_cbranch_execz .LBB4_846
.LBB4_977:                              ;   in Loop: Header=BB4_634 Depth=2
	v_cmp_ne_u16_e64 vcc_lo, 0, v144
	v_mov_b32_e32 v134, 0
	s_and_not1_b32 s7, s7, exec_lo
	s_delay_alu instid0(VALU_DEP_2) | instskip(NEXT) | instid1(SALU_CYCLE_1)
	s_and_b32 s8, vcc_lo, exec_lo
	s_or_b32 s7, s7, s8
	s_or_b32 exec_lo, exec_lo, s18
	s_and_saveexec_b32 s8, s7
	s_cbranch_execnz .LBB4_847
	s_branch .LBB4_848
.LBB4_978:                              ;   in Loop: Header=BB4_634 Depth=2
	s_mov_b32 s7, -1
	s_mov_b32 s19, exec_lo
                                        ; implicit-def: $sgpr8
	v_cmpx_eq_u16_e32 0x80, v87
; %bb.979:                              ;   in Loop: Header=BB4_634 Depth=2
	s_mov_b32 s8, 0x7f800001
	s_xor_b32 s7, exec_lo, -1
; %bb.980:                              ;   in Loop: Header=BB4_634 Depth=2
	s_or_b32 exec_lo, exec_lo, s19
	s_delay_alu instid0(SALU_CYCLE_1)
	s_and_b32 s7, s7, exec_lo
                                        ; implicit-def: $vgpr87
	s_or_saveexec_b32 s18, s18
	v_mov_b32_e32 v135, s8
	s_xor_b32 exec_lo, exec_lo, s18
	s_cbranch_execz .LBB4_850
.LBB4_981:                              ;   in Loop: Header=BB4_634 Depth=2
	v_cmp_ne_u16_e32 vcc_lo, 0, v87
	v_mov_b32_e32 v135, 0
	s_and_not1_b32 s7, s7, exec_lo
	s_and_b32 s8, vcc_lo, exec_lo
	s_delay_alu instid0(SALU_CYCLE_1)
	s_or_b32 s7, s7, s8
	s_or_b32 exec_lo, exec_lo, s18
	v_lshl_or_b32 v87, v18, 16, v133
	s_and_saveexec_b32 s8, s7
	s_cbranch_execnz .LBB4_851
	s_branch .LBB4_852
.LBB4_982:                              ;   in Loop: Header=BB4_634 Depth=2
	s_mov_b32 s7, -1
	s_mov_b32 s19, exec_lo
                                        ; implicit-def: $sgpr8
	v_cmpx_eq_u16_e64 0x80, v134
; %bb.983:                              ;   in Loop: Header=BB4_634 Depth=2
	s_mov_b32 s8, 0x7f800001
	s_xor_b32 s7, exec_lo, -1
; %bb.984:                              ;   in Loop: Header=BB4_634 Depth=2
	s_or_b32 exec_lo, exec_lo, s19
	s_delay_alu instid0(SALU_CYCLE_1)
	s_and_b32 s7, s7, exec_lo
	s_or_saveexec_b32 s18, s18
	v_mov_b32_e32 v133, s8
	s_xor_b32 exec_lo, exec_lo, s18
	s_cbranch_execz .LBB4_862
.LBB4_985:                              ;   in Loop: Header=BB4_634 Depth=2
	v_cmp_ne_u16_e64 vcc_lo, 0, v134
	v_mov_b32_e32 v133, 0
	s_and_not1_b32 s7, s7, exec_lo
	s_delay_alu instid0(VALU_DEP_2) | instskip(NEXT) | instid1(SALU_CYCLE_1)
	s_and_b32 s8, vcc_lo, exec_lo
	s_or_b32 s7, s7, s8
	s_or_b32 exec_lo, exec_lo, s18
	s_and_saveexec_b32 s8, s7
	s_cbranch_execnz .LBB4_863
	s_branch .LBB4_864
.LBB4_986:                              ;   in Loop: Header=BB4_634 Depth=2
	s_mov_b32 s7, -1
	s_mov_b32 s19, exec_lo
                                        ; implicit-def: $sgpr8
	v_cmpx_eq_u16_e32 0x80, v19
; %bb.987:                              ;   in Loop: Header=BB4_634 Depth=2
	s_mov_b32 s8, 0x7f800001
	s_xor_b32 s7, exec_lo, -1
; %bb.988:                              ;   in Loop: Header=BB4_634 Depth=2
	s_or_b32 exec_lo, exec_lo, s19
	s_delay_alu instid0(SALU_CYCLE_1)
	s_and_b32 s7, s7, exec_lo
	s_or_saveexec_b32 s18, s18
	v_mov_b32_e32 v134, s8
	s_xor_b32 exec_lo, exec_lo, s18
	s_cbranch_execz .LBB4_866
.LBB4_989:                              ;   in Loop: Header=BB4_634 Depth=2
	v_cmp_ne_u16_e32 vcc_lo, 0, v19
	v_mov_b32_e32 v134, 0
	s_and_not1_b32 s7, s7, exec_lo
	s_and_b32 s8, vcc_lo, exec_lo
	s_delay_alu instid0(SALU_CYCLE_1)
	s_or_b32 s7, s7, s8
	s_or_b32 exec_lo, exec_lo, s18
	s_and_saveexec_b32 s8, s7
	s_cbranch_execnz .LBB4_867
	s_branch .LBB4_868
.LBB4_990:                              ;   in Loop: Header=BB4_40 Depth=1
	s_or_b32 exec_lo, exec_lo, s17
.LBB4_991:                              ;   in Loop: Header=BB4_40 Depth=1
	s_delay_alu instid0(SALU_CYCLE_1)
	s_or_b32 exec_lo, exec_lo, s9
	s_and_saveexec_b32 s7, s3
	s_cbranch_execz .LBB4_1013
; %bb.992:                              ;   in Loop: Header=BB4_40 Depth=1
	s_and_saveexec_b32 s8, s4
	s_delay_alu instid0(SALU_CYCLE_1)
	s_xor_b32 s8, exec_lo, s8
	s_cbranch_execz .LBB4_1010
; %bb.993:                              ;   in Loop: Header=BB4_40 Depth=1
	s_and_saveexec_b32 s9, s5
	s_cbranch_execz .LBB4_1009
; %bb.994:                              ;   in Loop: Header=BB4_40 Depth=1
	s_mov_b32 s18, exec_lo
	s_mov_b32 s17, exec_lo
	v_mbcnt_lo_u32_b32 v17, s18, 0
	s_waitcnt vmcnt(0) lgkmcnt(0)
	s_waitcnt_vscnt null, 0x0
	buffer_gl1_inv
	buffer_gl0_inv
	v_cmpx_eq_u32_e32 0, v17
	s_cbranch_execz .LBB4_996
; %bb.995:                              ;   in Loop: Header=BB4_40 Depth=1
	s_bcnt1_i32_b32 s18, s18
	s_delay_alu instid0(SALU_CYCLE_1)
	v_mov_b32_e32 v54, s18
	ds_add_u64 v0, v[54:55]
	s_cbranch_execnz .LBB4_1082
.LBB4_996:                              ;   in Loop: Header=BB4_40 Depth=1
	s_or_b32 exec_lo, exec_lo, s17
	s_cbranch_execnz .LBB4_1070
; %bb.997:                              ;   in Loop: Header=BB4_40 Depth=1
	ds_load_b64 v[17:18], v0
	v_add_co_u32 v2, vcc_lo, v2, v101
	v_add_co_ci_u32_e32 v3, vcc_lo, v3, v112, vcc_lo
	s_mov_b32 s17, exec_lo
	s_waitcnt lgkmcnt(0)
	s_delay_alu instid0(VALU_DEP_1)
	v_cmpx_lt_u64_e64 v[17:18], v[2:3]
	s_cbranch_execz .LBB4_1008
; %bb.998:                              ;   in Loop: Header=BB4_40 Depth=1
	s_mov_b32 s18, 0
	s_mov_b32 s21, 0
                                        ; implicit-def: $sgpr19
                                        ; implicit-def: $sgpr20
	s_branch .LBB4_1000
.LBB4_999:                              ;   in Loop: Header=BB4_1000 Depth=2
	s_or_b32 exec_lo, exec_lo, s24
	s_delay_alu instid0(SALU_CYCLE_1) | instskip(NEXT) | instid1(SALU_CYCLE_1)
	s_and_b32 s22, exec_lo, s23
	s_or_b32 s18, s22, s18
	s_and_not1_b32 s19, s19, exec_lo
	s_and_b32 s22, s20, exec_lo
	s_delay_alu instid0(SALU_CYCLE_1)
	s_or_b32 s19, s19, s22
	s_and_not1_b32 exec_lo, exec_lo, s18
	s_cbranch_execz .LBB4_1006
.LBB4_1000:                             ;   Parent Loop BB4_40 Depth=1
                                        ; =>  This Inner Loop Header: Depth=2
	s_add_i32 s21, s21, 1
                                        ; implicit-def: $sgpr23
	s_delay_alu instid0(SALU_CYCLE_1) | instskip(SKIP_1) | instid1(SALU_CYCLE_1)
	s_cmpk_lg_i32 s21, 0x2710
	s_cselect_b32 s22, -1, 0
	s_and_b32 vcc_lo, exec_lo, s22
	s_cbranch_vccz .LBB4_1004
.LBB4_1001:                             ;   in Loop: Header=BB4_1000 Depth=2
	s_and_not1_b32 s20, s20, exec_lo
	s_and_b32 s24, s23, exec_lo
	s_mov_b32 s23, -1
	s_or_b32 s20, s20, s24
	s_and_saveexec_b32 s24, s22
	s_cbranch_execz .LBB4_999
; %bb.1002:                             ;   in Loop: Header=BB4_1000 Depth=2
	s_sleep 1
	s_cbranch_execnz .LBB4_1090
; %bb.1003:                             ;   in Loop: Header=BB4_1000 Depth=2
	ds_load_b64 v[17:18], v0
	s_and_not1_b32 s20, s20, exec_lo
	s_waitcnt lgkmcnt(0)
	v_cmp_ge_u64_e32 vcc_lo, v[17:18], v[2:3]
	s_or_not1_b32 s23, vcc_lo, exec_lo
	s_branch .LBB4_999
.LBB4_1004:                             ;   in Loop: Header=BB4_1000 Depth=2
	s_cbranch_execnz .LBB4_1092
; %bb.1005:                             ;   in Loop: Header=BB4_1000 Depth=2
	ds_load_b64 v[17:18], v0
	s_and_not1_b32 s22, s22, exec_lo
	s_mov_b32 s21, 0
	s_mov_b32 s23, -1
	s_waitcnt lgkmcnt(0)
	flat_load_b32 v17, v[17:18] glc
	s_waitcnt vmcnt(0) lgkmcnt(0)
	buffer_gl1_inv
	buffer_gl0_inv
	v_cmp_eq_u32_e32 vcc_lo, 0, v17
	s_and_b32 s24, vcc_lo, exec_lo
	s_delay_alu instid0(SALU_CYCLE_1)
	s_or_b32 s22, s22, s24
	s_branch .LBB4_1001
.LBB4_1006:                             ;   in Loop: Header=BB4_40 Depth=1
	s_or_b32 exec_lo, exec_lo, s18
	s_and_saveexec_b32 s18, s19
	s_delay_alu instid0(SALU_CYCLE_1)
	s_xor_b32 s18, exec_lo, s18
	s_cbranch_execz .LBB4_1008
; %bb.1007:                             ;   in Loop: Header=BB4_40 Depth=1
	ds_store_b32 v0, v130
	s_cbranch_execnz .LBB4_1109
.LBB4_1008:                             ;   in Loop: Header=BB4_40 Depth=1
	s_or_b32 exec_lo, exec_lo, s17
	;;#ASMSTART
	s_wakeup
	;;#ASMEND
.LBB4_1009:                             ;   in Loop: Header=BB4_40 Depth=1
	s_or_b32 exec_lo, exec_lo, s9
.LBB4_1010:                             ;   in Loop: Header=BB4_40 Depth=1
	s_and_not1_saveexec_b32 s8, s8
	s_cbranch_execz .LBB4_1012
; %bb.1011:                             ;   in Loop: Header=BB4_40 Depth=1
	s_waitcnt vmcnt(0) lgkmcnt(0)
	s_waitcnt_vscnt null, 0x0
	buffer_gl1_inv
	buffer_gl0_inv
	s_barrier
.LBB4_1012:                             ;   in Loop: Header=BB4_40 Depth=1
	s_or_b32 exec_lo, exec_lo, s8
.LBB4_1013:                             ;   in Loop: Header=BB4_40 Depth=1
	s_delay_alu instid0(SALU_CYCLE_1)
	s_or_b32 exec_lo, exec_lo, s7
	s_and_saveexec_b32 s7, s6
	s_cbranch_execz .LBB4_1015
; %bb.1014:                             ;   in Loop: Header=BB4_40 Depth=1
	v_add_co_u32 v48, vcc_lo, v48, 1
	v_add_co_ci_u32_e32 v49, vcc_lo, 0, v49, vcc_lo
	s_waitcnt vmcnt(0) lgkmcnt(0)
	s_waitcnt_vscnt null, 0x0
	flat_store_b64 v[36:37], v[48:49]
.LBB4_1015:                             ;   in Loop: Header=BB4_40 Depth=1
	s_or_b32 exec_lo, exec_lo, s7
	v_add_co_u32 v9, vcc_lo, v9, v64
	v_add_co_ci_u32_e32 v10, vcc_lo, 0, v10, vcc_lo
	v_add_co_u32 v32, vcc_lo, v32, 1
	v_add_co_ci_u32_e32 v33, vcc_lo, 0, v33, vcc_lo
	s_delay_alu instid0(VALU_DEP_3) | instskip(SKIP_1) | instid1(VALU_DEP_1)
	v_cmp_ge_u64_e32 vcc_lo, v[9:10], v[7:8]
	v_add_co_u32 v5, s7, v5, v64
	v_add_co_ci_u32_e64 v6, s7, 0, v6, s7
	s_or_b32 s15, vcc_lo, s15
	s_delay_alu instid0(SALU_CYCLE_1)
	s_and_not1_b32 exec_lo, exec_lo, s15
	s_cbranch_execnz .LBB4_40
; %bb.1016:
	s_or_b32 exec_lo, exec_lo, s15
.LBB4_1017:
	s_delay_alu instid0(SALU_CYCLE_1)
	s_or_b32 exec_lo, exec_lo, s13
	s_and_saveexec_b32 s1, s12
	s_cbranch_execz .LBB4_1019
; %bb.1018:
	s_waitcnt lgkmcnt(0)
	flat_store_b64 v[27:28], v[48:49] offset:104
.LBB4_1019:
	s_or_b32 exec_lo, exec_lo, s1
	s_and_saveexec_b32 s1, s0
	s_cbranch_execz .LBB4_1021
; %bb.1020:
	s_waitcnt lgkmcnt(0)
	flat_store_b64 v[34:35], v[15:16] offset:104
.LBB4_1021:
	s_or_b32 exec_lo, exec_lo, s1
	s_delay_alu instid0(SALU_CYCLE_1)
	s_mov_b32 s0, exec_lo
	v_cmpx_ne_u32_e32 32, v1
	s_cbranch_execz .LBB4_1100
; %bb.1022:
	s_mov_b32 s1, exec_lo
	v_cmpx_ne_u32_e64 v98, v1
	s_xor_b32 s1, exec_lo, s1
	s_cbranch_execz .LBB4_1098
; %bb.1023:
	v_and_b32_e32 v0, 31, v31
	s_mov_b32 s2, exec_lo
	s_delay_alu instid0(VALU_DEP_1)
	v_cmpx_eq_u32_e32 0, v0
	s_cbranch_execz .LBB4_1097
; %bb.1024:
	s_mov_b32 s4, exec_lo
	s_mov_b32 s3, exec_lo
	v_mbcnt_lo_u32_b32 v0, s4, 0
	s_waitcnt vmcnt(0) lgkmcnt(0)
	s_waitcnt_vscnt null, 0x0
	buffer_gl1_inv
	buffer_gl0_inv
	v_cmpx_eq_u32_e32 0, v0
	s_cbranch_execz .LBB4_1026
; %bb.1025:
	s_bcnt1_i32_b32 s4, s4
	s_delay_alu instid0(SALU_CYCLE_1)
	v_dual_mov_b32 v5, 0 :: v_dual_mov_b32 v4, s4
	ds_add_u64 v0, v[4:5]
	s_cbranch_execnz .LBB4_1058
.LBB4_1026:
	s_or_b32 exec_lo, exec_lo, s3
	s_cbranch_execnz .LBB4_1043
; %bb.1027:
	v_ashrrev_i32_e32 v0, 31, v1
	s_mov_b32 s3, exec_lo
	s_delay_alu instid0(VALU_DEP_1) | instskip(NEXT) | instid1(VALU_DEP_1)
	v_lshrrev_b32_e32 v0, 27, v0
	v_add_nc_u32_e32 v0, v1, v0
	ds_load_b64 v[4:5], v0
	v_ashrrev_i32_e32 v0, 5, v0
	s_delay_alu instid0(VALU_DEP_1) | instskip(SKIP_1) | instid1(VALU_DEP_2)
	v_ashrrev_i32_e32 v1, 31, v0
	v_add_co_u32 v0, vcc_lo, v2, v0
	v_add_co_ci_u32_e32 v1, vcc_lo, v3, v1, vcc_lo
	s_waitcnt lgkmcnt(0)
	s_delay_alu instid0(VALU_DEP_1)
	v_cmpx_lt_u64_e64 v[4:5], v[0:1]
	s_cbranch_execz .LBB4_1096
; %bb.1028:
	s_mov_b32 s4, 0
	s_mov_b32 s7, 0
                                        ; implicit-def: $sgpr5
                                        ; implicit-def: $sgpr6
	s_branch .LBB4_1048
.LBB4_1029:
	s_trap 2
	s_sendmsg_rtn_b32 s0, sendmsg(MSG_RTN_GET_DOORBELL)
	s_mov_b32 ttmp2, m0
	s_waitcnt lgkmcnt(0)
	s_and_b32 s0, s0, 0x3ff
	s_delay_alu instid0(SALU_CYCLE_1) | instskip(NEXT) | instid1(SALU_CYCLE_1)
	s_bitset1_b32 s0, 10
	s_mov_b32 m0, s0
	s_sendmsg sendmsg(MSG_INTERRUPT)
	s_mov_b32 m0, ttmp2
.LBB4_1030:                             ; =>This Inner Loop Header: Depth=1
	s_sethalt 5
	s_branch .LBB4_1030
.LBB4_1031:
	s_trap 2
	s_sendmsg_rtn_b32 s0, sendmsg(MSG_RTN_GET_DOORBELL)
	s_mov_b32 ttmp2, m0
	s_waitcnt lgkmcnt(0)
	s_and_b32 s0, s0, 0x3ff
	s_delay_alu instid0(SALU_CYCLE_1) | instskip(NEXT) | instid1(SALU_CYCLE_1)
	s_bitset1_b32 s0, 10
	s_mov_b32 m0, s0
	s_sendmsg sendmsg(MSG_INTERRUPT)
	s_mov_b32 m0, ttmp2
.LBB4_1032:                             ; =>This Inner Loop Header: Depth=1
	s_sethalt 5
	s_branch .LBB4_1032
.LBB4_1033:
	s_trap 2
	s_sendmsg_rtn_b32 s0, sendmsg(MSG_RTN_GET_DOORBELL)
	s_mov_b32 ttmp2, m0
	s_waitcnt lgkmcnt(0)
	s_and_b32 s0, s0, 0x3ff
	s_delay_alu instid0(SALU_CYCLE_1) | instskip(NEXT) | instid1(SALU_CYCLE_1)
	s_bitset1_b32 s0, 10
	s_mov_b32 m0, s0
	s_sendmsg sendmsg(MSG_INTERRUPT)
	s_mov_b32 m0, ttmp2
.LBB4_1034:                             ; =>This Inner Loop Header: Depth=1
	s_sethalt 5
	s_branch .LBB4_1034
.LBB4_1035:
	s_trap 2
	s_sendmsg_rtn_b32 s0, sendmsg(MSG_RTN_GET_DOORBELL)
	s_mov_b32 ttmp2, m0
	s_waitcnt lgkmcnt(0)
	s_and_b32 s0, s0, 0x3ff
	s_delay_alu instid0(SALU_CYCLE_1) | instskip(NEXT) | instid1(SALU_CYCLE_1)
	s_bitset1_b32 s0, 10
	s_mov_b32 m0, s0
	s_sendmsg sendmsg(MSG_INTERRUPT)
	s_mov_b32 m0, ttmp2
.LBB4_1036:                             ; =>This Inner Loop Header: Depth=1
	s_sethalt 5
	s_branch .LBB4_1036
.LBB4_1037:
	s_trap 2
	s_sendmsg_rtn_b32 s0, sendmsg(MSG_RTN_GET_DOORBELL)
	s_mov_b32 ttmp2, m0
	s_waitcnt lgkmcnt(0)
	s_and_b32 s0, s0, 0x3ff
	s_delay_alu instid0(SALU_CYCLE_1) | instskip(NEXT) | instid1(SALU_CYCLE_1)
	s_bitset1_b32 s0, 10
	s_mov_b32 m0, s0
	s_sendmsg sendmsg(MSG_INTERRUPT)
	s_mov_b32 m0, ttmp2
.LBB4_1038:                             ; =>This Inner Loop Header: Depth=1
	s_sethalt 5
	s_branch .LBB4_1038
.LBB4_1039:
	s_trap 2
	s_sendmsg_rtn_b32 s0, sendmsg(MSG_RTN_GET_DOORBELL)
	s_mov_b32 ttmp2, m0
	s_waitcnt lgkmcnt(0)
	s_and_b32 s0, s0, 0x3ff
	s_delay_alu instid0(SALU_CYCLE_1) | instskip(NEXT) | instid1(SALU_CYCLE_1)
	s_bitset1_b32 s0, 10
	s_mov_b32 m0, s0
	s_sendmsg sendmsg(MSG_INTERRUPT)
	s_mov_b32 m0, ttmp2
.LBB4_1040:                             ; =>This Inner Loop Header: Depth=1
	s_sethalt 5
	s_branch .LBB4_1040
.LBB4_1041:
	s_trap 2
	s_sendmsg_rtn_b32 s0, sendmsg(MSG_RTN_GET_DOORBELL)
	s_mov_b32 ttmp2, m0
	s_waitcnt lgkmcnt(0)
	s_and_b32 s0, s0, 0x3ff
	s_delay_alu instid0(SALU_CYCLE_1) | instskip(NEXT) | instid1(SALU_CYCLE_1)
	s_bitset1_b32 s0, 10
	s_mov_b32 m0, s0
	s_sendmsg sendmsg(MSG_INTERRUPT)
	s_mov_b32 m0, ttmp2
.LBB4_1042:                             ; =>This Inner Loop Header: Depth=1
	s_sethalt 5
	s_branch .LBB4_1042
.LBB4_1043:
	s_trap 2
	s_sendmsg_rtn_b32 s0, sendmsg(MSG_RTN_GET_DOORBELL)
	s_mov_b32 ttmp2, m0
	s_waitcnt lgkmcnt(0)
	s_and_b32 s0, s0, 0x3ff
	s_delay_alu instid0(SALU_CYCLE_1) | instskip(NEXT) | instid1(SALU_CYCLE_1)
	s_bitset1_b32 s0, 10
	s_mov_b32 m0, s0
	s_sendmsg sendmsg(MSG_INTERRUPT)
	s_mov_b32 m0, ttmp2
.LBB4_1044:                             ; =>This Inner Loop Header: Depth=1
	s_sethalt 5
	s_branch .LBB4_1044
.LBB4_1045:
	s_trap 2
	s_sendmsg_rtn_b32 s0, sendmsg(MSG_RTN_GET_DOORBELL)
	s_mov_b32 ttmp2, m0
	s_waitcnt lgkmcnt(0)
	s_and_b32 s0, s0, 0x3ff
	s_delay_alu instid0(SALU_CYCLE_1) | instskip(NEXT) | instid1(SALU_CYCLE_1)
	s_bitset1_b32 s0, 10
	s_mov_b32 m0, s0
	s_sendmsg sendmsg(MSG_INTERRUPT)
	s_mov_b32 m0, ttmp2
.LBB4_1046:                             ; =>This Inner Loop Header: Depth=1
	s_sethalt 5
	s_branch .LBB4_1046
.LBB4_1047:                             ;   in Loop: Header=BB4_1048 Depth=1
	s_or_b32 exec_lo, exec_lo, s10
	s_delay_alu instid0(SALU_CYCLE_1) | instskip(NEXT) | instid1(SALU_CYCLE_1)
	s_and_b32 s8, exec_lo, s9
	s_or_b32 s4, s8, s4
	s_and_not1_b32 s5, s5, exec_lo
	s_and_b32 s8, s6, exec_lo
	s_delay_alu instid0(SALU_CYCLE_1)
	s_or_b32 s5, s5, s8
	s_and_not1_b32 exec_lo, exec_lo, s4
	s_cbranch_execz .LBB4_1094
.LBB4_1048:                             ; =>This Inner Loop Header: Depth=1
	s_add_i32 s7, s7, 1
                                        ; implicit-def: $sgpr9
	s_delay_alu instid0(SALU_CYCLE_1) | instskip(SKIP_1) | instid1(SALU_CYCLE_1)
	s_cmpk_lg_i32 s7, 0x2710
	s_cselect_b32 s8, -1, 0
	s_and_b32 vcc_lo, exec_lo, s8
	s_cbranch_vccz .LBB4_1052
.LBB4_1049:                             ;   in Loop: Header=BB4_1048 Depth=1
	s_and_not1_b32 s6, s6, exec_lo
	s_and_b32 s10, s9, exec_lo
	s_mov_b32 s9, -1
	s_or_b32 s6, s6, s10
	s_and_saveexec_b32 s10, s8
	s_cbranch_execz .LBB4_1047
; %bb.1050:                             ;   in Loop: Header=BB4_1048 Depth=1
	s_sleep 1
	s_cbranch_execnz .LBB4_1072
; %bb.1051:                             ;   in Loop: Header=BB4_1048 Depth=1
	ds_load_b64 v[2:3], v0
	s_and_not1_b32 s6, s6, exec_lo
	s_waitcnt lgkmcnt(0)
	v_cmp_ge_u64_e32 vcc_lo, v[2:3], v[0:1]
	s_or_not1_b32 s9, vcc_lo, exec_lo
	s_branch .LBB4_1047
.LBB4_1052:                             ;   in Loop: Header=BB4_1048 Depth=1
	s_cbranch_execnz .LBB4_1078
; %bb.1053:                             ;   in Loop: Header=BB4_1048 Depth=1
	ds_load_b64 v[2:3], v0
	s_and_not1_b32 s8, s8, exec_lo
	s_mov_b32 s7, 0
	s_mov_b32 s9, -1
	s_waitcnt lgkmcnt(0)
	flat_load_b32 v2, v[2:3] glc
	s_waitcnt vmcnt(0) lgkmcnt(0)
	buffer_gl1_inv
	buffer_gl0_inv
	v_cmp_eq_u32_e32 vcc_lo, 0, v2
	s_and_b32 s10, vcc_lo, exec_lo
	s_delay_alu instid0(SALU_CYCLE_1)
	s_or_b32 s8, s8, s10
	s_branch .LBB4_1049
.LBB4_1054:
	s_trap 2
	s_sendmsg_rtn_b32 s0, sendmsg(MSG_RTN_GET_DOORBELL)
	s_mov_b32 ttmp2, m0
	s_waitcnt lgkmcnt(0)
	s_and_b32 s0, s0, 0x3ff
	s_delay_alu instid0(SALU_CYCLE_1) | instskip(NEXT) | instid1(SALU_CYCLE_1)
	s_bitset1_b32 s0, 10
	s_mov_b32 m0, s0
	s_sendmsg sendmsg(MSG_INTERRUPT)
	s_mov_b32 m0, ttmp2
.LBB4_1055:                             ; =>This Inner Loop Header: Depth=1
	s_sethalt 5
	s_branch .LBB4_1055
.LBB4_1056:
	s_trap 2
	s_sendmsg_rtn_b32 s0, sendmsg(MSG_RTN_GET_DOORBELL)
	s_mov_b32 ttmp2, m0
	s_waitcnt lgkmcnt(0)
	s_and_b32 s0, s0, 0x3ff
	s_delay_alu instid0(SALU_CYCLE_1) | instskip(NEXT) | instid1(SALU_CYCLE_1)
	s_bitset1_b32 s0, 10
	s_mov_b32 m0, s0
	s_sendmsg sendmsg(MSG_INTERRUPT)
	s_mov_b32 m0, ttmp2
.LBB4_1057:                             ; =>This Inner Loop Header: Depth=1
	s_sethalt 5
	s_branch .LBB4_1057
.LBB4_1058:
	s_trap 2
	s_sendmsg_rtn_b32 s0, sendmsg(MSG_RTN_GET_DOORBELL)
	s_mov_b32 ttmp2, m0
	s_waitcnt lgkmcnt(0)
	s_and_b32 s0, s0, 0x3ff
	s_delay_alu instid0(SALU_CYCLE_1) | instskip(NEXT) | instid1(SALU_CYCLE_1)
	s_bitset1_b32 s0, 10
	s_mov_b32 m0, s0
	s_sendmsg sendmsg(MSG_INTERRUPT)
	s_mov_b32 m0, ttmp2
.LBB4_1059:                             ; =>This Inner Loop Header: Depth=1
	s_sethalt 5
	s_branch .LBB4_1059
.LBB4_1060:
	s_trap 2
	s_sendmsg_rtn_b32 s0, sendmsg(MSG_RTN_GET_DOORBELL)
	s_mov_b32 ttmp2, m0
	s_waitcnt lgkmcnt(0)
	s_and_b32 s0, s0, 0x3ff
	s_delay_alu instid0(SALU_CYCLE_1) | instskip(NEXT) | instid1(SALU_CYCLE_1)
	s_bitset1_b32 s0, 10
	s_mov_b32 m0, s0
	s_sendmsg sendmsg(MSG_INTERRUPT)
	s_mov_b32 m0, ttmp2
.LBB4_1061:                             ; =>This Inner Loop Header: Depth=1
	s_sethalt 5
	s_branch .LBB4_1061
.LBB4_1062:
	s_trap 2
	s_sendmsg_rtn_b32 s0, sendmsg(MSG_RTN_GET_DOORBELL)
	s_mov_b32 ttmp2, m0
	s_waitcnt lgkmcnt(0)
	s_and_b32 s0, s0, 0x3ff
	s_delay_alu instid0(SALU_CYCLE_1) | instskip(NEXT) | instid1(SALU_CYCLE_1)
	s_bitset1_b32 s0, 10
	s_mov_b32 m0, s0
	s_sendmsg sendmsg(MSG_INTERRUPT)
	s_mov_b32 m0, ttmp2
.LBB4_1063:                             ; =>This Inner Loop Header: Depth=1
	s_sethalt 5
	s_branch .LBB4_1063
.LBB4_1064:
	s_trap 2
	s_sendmsg_rtn_b32 s0, sendmsg(MSG_RTN_GET_DOORBELL)
	s_mov_b32 ttmp2, m0
	s_waitcnt lgkmcnt(0)
	s_and_b32 s0, s0, 0x3ff
	s_delay_alu instid0(SALU_CYCLE_1) | instskip(NEXT) | instid1(SALU_CYCLE_1)
	s_bitset1_b32 s0, 10
	s_mov_b32 m0, s0
	s_sendmsg sendmsg(MSG_INTERRUPT)
	s_mov_b32 m0, ttmp2
.LBB4_1065:                             ; =>This Inner Loop Header: Depth=1
	s_sethalt 5
	s_branch .LBB4_1065
.LBB4_1066:
	s_trap 2
	s_sendmsg_rtn_b32 s0, sendmsg(MSG_RTN_GET_DOORBELL)
	s_mov_b32 ttmp2, m0
	s_waitcnt lgkmcnt(0)
	s_and_b32 s0, s0, 0x3ff
	s_delay_alu instid0(SALU_CYCLE_1) | instskip(NEXT) | instid1(SALU_CYCLE_1)
	s_bitset1_b32 s0, 10
	s_mov_b32 m0, s0
	s_sendmsg sendmsg(MSG_INTERRUPT)
	s_mov_b32 m0, ttmp2
.LBB4_1067:                             ; =>This Inner Loop Header: Depth=1
	s_sethalt 5
	s_branch .LBB4_1067
.LBB4_1068:
	s_trap 2
	s_sendmsg_rtn_b32 s0, sendmsg(MSG_RTN_GET_DOORBELL)
	s_mov_b32 ttmp2, m0
	s_waitcnt lgkmcnt(0)
	s_and_b32 s0, s0, 0x3ff
	s_delay_alu instid0(SALU_CYCLE_1) | instskip(NEXT) | instid1(SALU_CYCLE_1)
	s_bitset1_b32 s0, 10
	s_mov_b32 m0, s0
	s_sendmsg sendmsg(MSG_INTERRUPT)
	s_mov_b32 m0, ttmp2
.LBB4_1069:                             ; =>This Inner Loop Header: Depth=1
	s_sethalt 5
	s_branch .LBB4_1069
.LBB4_1070:
	s_trap 2
	s_sendmsg_rtn_b32 s0, sendmsg(MSG_RTN_GET_DOORBELL)
	s_mov_b32 ttmp2, m0
	s_waitcnt lgkmcnt(0)
	s_and_b32 s0, s0, 0x3ff
	s_delay_alu instid0(SALU_CYCLE_1) | instskip(NEXT) | instid1(SALU_CYCLE_1)
	s_bitset1_b32 s0, 10
	s_mov_b32 m0, s0
	s_sendmsg sendmsg(MSG_INTERRUPT)
	s_mov_b32 m0, ttmp2
.LBB4_1071:                             ; =>This Inner Loop Header: Depth=1
	s_sethalt 5
	s_branch .LBB4_1071
.LBB4_1072:
	s_trap 2
	s_sendmsg_rtn_b32 s0, sendmsg(MSG_RTN_GET_DOORBELL)
	s_mov_b32 ttmp2, m0
	s_waitcnt lgkmcnt(0)
	s_and_b32 s0, s0, 0x3ff
	s_delay_alu instid0(SALU_CYCLE_1) | instskip(NEXT) | instid1(SALU_CYCLE_1)
	s_bitset1_b32 s0, 10
	s_mov_b32 m0, s0
	s_sendmsg sendmsg(MSG_INTERRUPT)
	s_mov_b32 m0, ttmp2
.LBB4_1073:                             ; =>This Inner Loop Header: Depth=1
	s_sethalt 5
	s_branch .LBB4_1073
.LBB4_1074:
	s_trap 2
	s_sendmsg_rtn_b32 s0, sendmsg(MSG_RTN_GET_DOORBELL)
	s_mov_b32 ttmp2, m0
	s_waitcnt lgkmcnt(0)
	s_and_b32 s0, s0, 0x3ff
	s_delay_alu instid0(SALU_CYCLE_1) | instskip(NEXT) | instid1(SALU_CYCLE_1)
	s_bitset1_b32 s0, 10
	s_mov_b32 m0, s0
	s_sendmsg sendmsg(MSG_INTERRUPT)
	s_mov_b32 m0, ttmp2
.LBB4_1075:                             ; =>This Inner Loop Header: Depth=1
	s_sethalt 5
	s_branch .LBB4_1075
.LBB4_1076:
	s_trap 2
	s_sendmsg_rtn_b32 s0, sendmsg(MSG_RTN_GET_DOORBELL)
	s_mov_b32 ttmp2, m0
	s_waitcnt lgkmcnt(0)
	s_and_b32 s0, s0, 0x3ff
	s_delay_alu instid0(SALU_CYCLE_1) | instskip(NEXT) | instid1(SALU_CYCLE_1)
	s_bitset1_b32 s0, 10
	s_mov_b32 m0, s0
	s_sendmsg sendmsg(MSG_INTERRUPT)
	s_mov_b32 m0, ttmp2
.LBB4_1077:                             ; =>This Inner Loop Header: Depth=1
	s_sethalt 5
	s_branch .LBB4_1077
.LBB4_1078:
	s_trap 2
	s_sendmsg_rtn_b32 s0, sendmsg(MSG_RTN_GET_DOORBELL)
	s_mov_b32 ttmp2, m0
	s_waitcnt lgkmcnt(0)
	s_and_b32 s0, s0, 0x3ff
	s_delay_alu instid0(SALU_CYCLE_1) | instskip(NEXT) | instid1(SALU_CYCLE_1)
	s_bitset1_b32 s0, 10
	s_mov_b32 m0, s0
	s_sendmsg sendmsg(MSG_INTERRUPT)
	s_mov_b32 m0, ttmp2
.LBB4_1079:                             ; =>This Inner Loop Header: Depth=1
	s_sethalt 5
	s_branch .LBB4_1079
.LBB4_1080:
	s_trap 2
	s_sendmsg_rtn_b32 s0, sendmsg(MSG_RTN_GET_DOORBELL)
	s_mov_b32 ttmp2, m0
	s_waitcnt lgkmcnt(0)
	s_and_b32 s0, s0, 0x3ff
	s_delay_alu instid0(SALU_CYCLE_1) | instskip(NEXT) | instid1(SALU_CYCLE_1)
	s_bitset1_b32 s0, 10
	s_mov_b32 m0, s0
	s_sendmsg sendmsg(MSG_INTERRUPT)
	s_mov_b32 m0, ttmp2
.LBB4_1081:                             ; =>This Inner Loop Header: Depth=1
	s_sethalt 5
	s_branch .LBB4_1081
.LBB4_1082:
	s_trap 2
	s_sendmsg_rtn_b32 s0, sendmsg(MSG_RTN_GET_DOORBELL)
	s_mov_b32 ttmp2, m0
	s_waitcnt lgkmcnt(0)
	s_and_b32 s0, s0, 0x3ff
	s_delay_alu instid0(SALU_CYCLE_1) | instskip(NEXT) | instid1(SALU_CYCLE_1)
	s_bitset1_b32 s0, 10
	s_mov_b32 m0, s0
	s_sendmsg sendmsg(MSG_INTERRUPT)
	s_mov_b32 m0, ttmp2
.LBB4_1083:                             ; =>This Inner Loop Header: Depth=1
	s_sethalt 5
	s_branch .LBB4_1083
.LBB4_1084:
	s_trap 2
	s_sendmsg_rtn_b32 s0, sendmsg(MSG_RTN_GET_DOORBELL)
	s_mov_b32 ttmp2, m0
	s_waitcnt lgkmcnt(0)
	s_and_b32 s0, s0, 0x3ff
	s_delay_alu instid0(SALU_CYCLE_1) | instskip(NEXT) | instid1(SALU_CYCLE_1)
	s_bitset1_b32 s0, 10
	s_mov_b32 m0, s0
	s_sendmsg sendmsg(MSG_INTERRUPT)
	s_mov_b32 m0, ttmp2
.LBB4_1085:                             ; =>This Inner Loop Header: Depth=1
	s_sethalt 5
	s_branch .LBB4_1085
.LBB4_1086:
	s_trap 2
	s_sendmsg_rtn_b32 s0, sendmsg(MSG_RTN_GET_DOORBELL)
	s_mov_b32 ttmp2, m0
	s_waitcnt lgkmcnt(0)
	s_and_b32 s0, s0, 0x3ff
	s_delay_alu instid0(SALU_CYCLE_1) | instskip(NEXT) | instid1(SALU_CYCLE_1)
	s_bitset1_b32 s0, 10
	s_mov_b32 m0, s0
	s_sendmsg sendmsg(MSG_INTERRUPT)
	s_mov_b32 m0, ttmp2
.LBB4_1087:                             ; =>This Inner Loop Header: Depth=1
	s_sethalt 5
	s_branch .LBB4_1087
.LBB4_1088:
	s_trap 2
	s_sendmsg_rtn_b32 s0, sendmsg(MSG_RTN_GET_DOORBELL)
	s_mov_b32 ttmp2, m0
	s_waitcnt lgkmcnt(0)
	s_and_b32 s0, s0, 0x3ff
	s_delay_alu instid0(SALU_CYCLE_1) | instskip(NEXT) | instid1(SALU_CYCLE_1)
	s_bitset1_b32 s0, 10
	s_mov_b32 m0, s0
	s_sendmsg sendmsg(MSG_INTERRUPT)
	s_mov_b32 m0, ttmp2
.LBB4_1089:                             ; =>This Inner Loop Header: Depth=1
	s_sethalt 5
	s_branch .LBB4_1089
.LBB4_1090:
	s_trap 2
	s_sendmsg_rtn_b32 s0, sendmsg(MSG_RTN_GET_DOORBELL)
	s_mov_b32 ttmp2, m0
	s_waitcnt lgkmcnt(0)
	s_and_b32 s0, s0, 0x3ff
	s_delay_alu instid0(SALU_CYCLE_1) | instskip(NEXT) | instid1(SALU_CYCLE_1)
	s_bitset1_b32 s0, 10
	s_mov_b32 m0, s0
	s_sendmsg sendmsg(MSG_INTERRUPT)
	s_mov_b32 m0, ttmp2
.LBB4_1091:                             ; =>This Inner Loop Header: Depth=1
	s_sethalt 5
	s_branch .LBB4_1091
.LBB4_1092:
	s_trap 2
	s_sendmsg_rtn_b32 s0, sendmsg(MSG_RTN_GET_DOORBELL)
	s_mov_b32 ttmp2, m0
	s_waitcnt lgkmcnt(0)
	s_and_b32 s0, s0, 0x3ff
	s_delay_alu instid0(SALU_CYCLE_1) | instskip(NEXT) | instid1(SALU_CYCLE_1)
	s_bitset1_b32 s0, 10
	s_mov_b32 m0, s0
	s_sendmsg sendmsg(MSG_INTERRUPT)
	s_mov_b32 m0, ttmp2
.LBB4_1093:                             ; =>This Inner Loop Header: Depth=1
	s_sethalt 5
	s_branch .LBB4_1093
.LBB4_1094:
	s_or_b32 exec_lo, exec_lo, s4
	s_and_saveexec_b32 s4, s5
	s_delay_alu instid0(SALU_CYCLE_1)
	s_xor_b32 s4, exec_lo, s4
	s_cbranch_execz .LBB4_1096
; %bb.1095:
	v_mov_b32_e32 v0, 1
	ds_store_b32 v0, v0
	s_cbranch_execnz .LBB4_1103
.LBB4_1096:
	s_or_b32 exec_lo, exec_lo, s3
	;;#ASMSTART
	s_wakeup
	;;#ASMEND
.LBB4_1097:
	s_or_b32 exec_lo, exec_lo, s2
.LBB4_1098:
	s_and_not1_saveexec_b32 s1, s1
	s_cbranch_execz .LBB4_1100
; %bb.1099:
	s_waitcnt vmcnt(0) lgkmcnt(0)
	s_waitcnt_vscnt null, 0x0
	buffer_gl1_inv
	buffer_gl0_inv
	s_barrier
.LBB4_1100:
	s_or_b32 exec_lo, exec_lo, s0
	s_waitcnt vmcnt(0) lgkmcnt(0)
	s_setpc_b64 s[30:31]
.LBB4_1101:
	s_trap 2
	s_sendmsg_rtn_b32 s0, sendmsg(MSG_RTN_GET_DOORBELL)
	s_mov_b32 ttmp2, m0
	s_waitcnt lgkmcnt(0)
	s_and_b32 s0, s0, 0x3ff
	s_delay_alu instid0(SALU_CYCLE_1) | instskip(NEXT) | instid1(SALU_CYCLE_1)
	s_bitset1_b32 s0, 10
	s_mov_b32 m0, s0
	s_sendmsg sendmsg(MSG_INTERRUPT)
	s_mov_b32 m0, ttmp2
.LBB4_1102:                             ; =>This Inner Loop Header: Depth=1
	s_sethalt 5
	s_branch .LBB4_1102
.LBB4_1103:
	s_trap 2
	s_sendmsg_rtn_b32 s0, sendmsg(MSG_RTN_GET_DOORBELL)
	s_mov_b32 ttmp2, m0
	s_waitcnt lgkmcnt(0)
	s_and_b32 s0, s0, 0x3ff
	s_delay_alu instid0(SALU_CYCLE_1) | instskip(NEXT) | instid1(SALU_CYCLE_1)
	s_bitset1_b32 s0, 10
	s_mov_b32 m0, s0
	s_sendmsg sendmsg(MSG_INTERRUPT)
	s_mov_b32 m0, ttmp2
.LBB4_1104:                             ; =>This Inner Loop Header: Depth=1
	s_sethalt 5
	s_branch .LBB4_1104
.LBB4_1105:
	s_trap 2
	s_sendmsg_rtn_b32 s0, sendmsg(MSG_RTN_GET_DOORBELL)
	s_mov_b32 ttmp2, m0
	s_waitcnt lgkmcnt(0)
	s_and_b32 s0, s0, 0x3ff
	s_delay_alu instid0(SALU_CYCLE_1) | instskip(NEXT) | instid1(SALU_CYCLE_1)
	s_bitset1_b32 s0, 10
	s_mov_b32 m0, s0
	s_sendmsg sendmsg(MSG_INTERRUPT)
	s_mov_b32 m0, ttmp2
.LBB4_1106:                             ; =>This Inner Loop Header: Depth=1
	s_sethalt 5
	s_branch .LBB4_1106
.LBB4_1107:
	s_trap 2
	s_sendmsg_rtn_b32 s0, sendmsg(MSG_RTN_GET_DOORBELL)
	s_mov_b32 ttmp2, m0
	s_waitcnt lgkmcnt(0)
	s_and_b32 s0, s0, 0x3ff
	s_delay_alu instid0(SALU_CYCLE_1) | instskip(NEXT) | instid1(SALU_CYCLE_1)
	s_bitset1_b32 s0, 10
	s_mov_b32 m0, s0
	s_sendmsg sendmsg(MSG_INTERRUPT)
	s_mov_b32 m0, ttmp2
.LBB4_1108:                             ; =>This Inner Loop Header: Depth=1
	s_sethalt 5
	s_branch .LBB4_1108
.LBB4_1109:
	s_trap 2
	s_sendmsg_rtn_b32 s0, sendmsg(MSG_RTN_GET_DOORBELL)
	s_mov_b32 ttmp2, m0
	s_waitcnt lgkmcnt(0)
	s_and_b32 s0, s0, 0x3ff
	s_delay_alu instid0(SALU_CYCLE_1) | instskip(NEXT) | instid1(SALU_CYCLE_1)
	s_bitset1_b32 s0, 10
	s_mov_b32 m0, s0
	s_sendmsg sendmsg(MSG_INTERRUPT)
	s_mov_b32 m0, ttmp2
.LBB4_1110:                             ; =>This Inner Loop Header: Depth=1
	s_sethalt 5
	s_branch .LBB4_1110
.Lfunc_end4:
	.size	_ZN12_GLOBAL__N_17runRingI11rccl_float813FuncPreMulSumIS1_E7ProtoLLLi0ELi4ELi0EEEviiP15ncclDevWorkColl, .Lfunc_end4-_ZN12_GLOBAL__N_17runRingI11rccl_float813FuncPreMulSumIS1_E7ProtoLLLi0ELi4ELi0EEEviiP15ncclDevWorkColl
                                        ; -- End function
	.section	.AMDGPU.csdata,"",@progbits
; Function info:
; codeLenInByte = 43064
; NumSgprs: 34
; NumVgprs: 168
; ScratchSize: 0
; MemoryBound: 0
	.text
	.p2align	2                               ; -- Begin function _Z56ncclDevFunc_ReduceScatter_RING_LL_PreMulSum_f8e4m3_0_0_4v
	.type	_Z56ncclDevFunc_ReduceScatter_RING_LL_PreMulSum_f8e4m3_0_0_4v,@function
_Z56ncclDevFunc_ReduceScatter_RING_LL_PreMulSum_f8e4m3_0_0_4v: ; @_Z56ncclDevFunc_ReduceScatter_RING_LL_PreMulSum_f8e4m3_0_0_4v
; %bb.0:
	s_waitcnt vmcnt(0) expcnt(0) lgkmcnt(0)
	s_mov_b32 s0, s33
	s_mov_b32 s33, s32
	s_or_saveexec_b32 s1, -1
	scratch_store_b32 off, v40, s33         ; 4-byte Folded Spill
	s_mov_b32 exec_lo, s1
	v_writelane_b32 v40, s0, 5
	s_add_i32 s32, s32, 16
	v_writelane_b32 v40, s34, 0
	v_writelane_b32 v40, s35, 1
	;; [unrolled: 1-line block ×5, first 2 shown]
	s_cbranch_execnz .LBB5_7
; %bb.1:
	ds_load_b32 v0, v0
	v_and_b32_e32 v176, 0x3ff, v31
	s_mov_b32 s0, exec_lo
	s_waitcnt lgkmcnt(0)
	s_delay_alu instid0(VALU_DEP_1)
	v_cmpx_lt_i32_e64 v176, v0
	s_cbranch_execz .LBB5_9
; %bb.2:
	s_load_b32 s1, s[8:9], 0x0
	v_mov_b32_e32 v1, 0
	s_waitcnt lgkmcnt(0)
	s_cmp_lt_u32 s12, s1
	s_cselect_b32 s1, 12, 18
	s_delay_alu instid0(SALU_CYCLE_1)
	s_add_u32 s2, s8, s1
	s_addc_u32 s3, s9, 0
	s_mov_b32 s1, 0
	global_load_u16 v1, v1, s[2:3]
	s_cbranch_execnz .LBB5_24
; %bb.3:
	ds_load_b32 v2, v0
	v_mov_b32_e32 v3, v176
	s_mov_b32 s2, 0
                                        ; implicit-def: $vgpr4
	s_waitcnt vmcnt(0) lgkmcnt(0)
	v_mul_lo_u32 v2, v2, v1
	s_branch .LBB5_5
	.p2align	6
.LBB5_4:                                ;   in Loop: Header=BB5_5 Depth=1
	s_or_b32 exec_lo, exec_lo, s3
	v_add_nc_u32_e32 v3, v3, v1
	v_add_nc_u32_e32 v4, v4, v2
	s_delay_alu instid0(VALU_DEP_2) | instskip(SKIP_1) | instid1(SALU_CYCLE_1)
	v_cmp_ge_i32_e32 vcc_lo, v3, v0
	s_or_b32 s1, vcc_lo, s1
	s_and_not1_b32 exec_lo, exec_lo, s1
	s_cbranch_execz .LBB5_9
.LBB5_5:                                ; =>This Inner Loop Header: Depth=1
	ds_load_b32 v5, v4
	s_mov_b32 s3, exec_lo
	s_waitcnt lgkmcnt(0)
	v_and_b32_e32 v5, 0x1000000, v5
	s_delay_alu instid0(VALU_DEP_1)
	v_cmpx_ne_u32_e32 0, v5
	s_cbranch_execz .LBB5_4
; %bb.6:                                ;   in Loop: Header=BB5_5 Depth=1
	ds_load_b64 v[5:6], v4 offset:104
	s_waitcnt lgkmcnt(0)
	flat_load_u8 v5, v[5:6]
	s_waitcnt vmcnt(0) lgkmcnt(0)
	v_dual_mov_b32 v6, s2 :: v_dual_and_b32 v5, 0xffff, v5
	ds_store_b64 v4, v[5:6] offset:104
	s_branch .LBB5_4
.LBB5_7:
	s_trap 2
	s_sendmsg_rtn_b32 s0, sendmsg(MSG_RTN_GET_DOORBELL)
	s_mov_b32 ttmp2, m0
	s_waitcnt lgkmcnt(0)
	s_and_b32 s0, s0, 0x3ff
	s_delay_alu instid0(SALU_CYCLE_1) | instskip(NEXT) | instid1(SALU_CYCLE_1)
	s_bitset1_b32 s0, 10
	s_mov_b32 m0, s0
	s_sendmsg sendmsg(MSG_INTERRUPT)
	s_mov_b32 m0, ttmp2
.LBB5_8:                                ; =>This Inner Loop Header: Depth=1
	s_sethalt 5
	s_branch .LBB5_8
.LBB5_9:
	s_or_b32 exec_lo, exec_lo, s0
	s_waitcnt lgkmcnt(0)
	s_waitcnt_vscnt null, 0x0
	s_barrier
	buffer_gl0_inv
	s_cbranch_execnz .LBB5_22
; %bb.10:
	ds_load_b32 v0, v0
	s_waitcnt lgkmcnt(0)
	v_cmp_gt_i32_e32 vcc_lo, 1, v0
	s_cbranch_vccnz .LBB5_21
; %bb.11:
	s_mov_b32 s36, 0
	s_mov_b64 s[34:35], src_shared_base
.LBB5_12:                               ; =>This Inner Loop Header: Depth=1
	s_cbranch_execnz .LBB5_26
; %bb.13:                               ;   in Loop: Header=BB5_12 Depth=1
	ds_load_b32 v0, v0
	s_cmp_eq_u32 s36, 0
	s_cbranch_scc1 .LBB5_17
; %bb.14:                               ;   in Loop: Header=BB5_12 Depth=1
	s_cbranch_execnz .LBB5_30
; %bb.15:                               ;   in Loop: Header=BB5_12 Depth=1
	s_waitcnt lgkmcnt(0)
	ds_load_b32 v1, v0
	s_waitcnt lgkmcnt(0)
	v_xor_b32_e32 v1, v1, v0
	s_delay_alu instid0(VALU_DEP_1) | instskip(NEXT) | instid1(VALU_DEP_1)
	v_and_b32_e32 v1, 0xff0000, v1
	v_cmp_eq_u32_e32 vcc_lo, 0, v1
	s_cbranch_vccnz .LBB5_17
; %bb.16:                               ;   in Loop: Header=BB5_12 Depth=1
	s_waitcnt_vscnt null, 0x0
	s_barrier
	buffer_gl0_inv
	ds_load_b32 v0, v0
.LBB5_17:                               ;   in Loop: Header=BB5_12 Depth=1
	s_waitcnt lgkmcnt(0)
	v_lshrrev_b32_e32 v0, 11, v0
	s_mov_b32 s34, exec_lo
	s_delay_alu instid0(VALU_DEP_1) | instskip(NEXT) | instid1(VALU_DEP_1)
	v_and_b32_e32 v1, 0x1fe0, v0
	v_cmpx_lt_u32_e64 v176, v1
	s_cbranch_execz .LBB5_19
; %bb.18:                               ;   in Loop: Header=BB5_12 Depth=1
	v_dual_mov_b32 v0, v176 :: v_dual_mov_b32 v3, s35
	s_getpc_b64 s[0:1]
	s_add_u32 s0, s0, _ZN12_GLOBAL__N_17runRingI11rccl_float813FuncPreMulSumIS1_E7ProtoLLLi0ELi4ELi0EEEviiP15ncclDevWorkColl@rel32@lo+4
	s_addc_u32 s1, s1, _ZN12_GLOBAL__N_17runRingI11rccl_float813FuncPreMulSumIS1_E7ProtoLLLi0ELi4ELi0EEEviiP15ncclDevWorkColl@rel32@hi+12
	s_mov_b64 s[28:29], s[8:9]
	s_mov_b32 s27, s12
	s_swappc_b64 s[30:31], s[0:1]
	s_mov_b32 s12, s27
	s_mov_b64 s[8:9], s[28:29]
.LBB5_19:                               ;   in Loop: Header=BB5_12 Depth=1
	s_or_b32 exec_lo, exec_lo, s34
	s_cbranch_execnz .LBB5_28
; %bb.20:                               ;   in Loop: Header=BB5_12 Depth=1
	ds_load_b32 v0, v0
	s_add_i32 s36, s36, 1
	s_waitcnt lgkmcnt(0)
	v_cmp_lt_i32_e32 vcc_lo, s36, v0
	s_cbranch_vccnz .LBB5_12
.LBB5_21:
	v_readlane_b32 s30, v40, 3
	v_readlane_b32 s31, v40, 4
	;; [unrolled: 1-line block ×6, first 2 shown]
	s_or_saveexec_b32 s1, -1
	scratch_load_b32 v40, off, s33          ; 4-byte Folded Reload
	s_mov_b32 exec_lo, s1
	s_add_i32 s32, s32, -16
	s_mov_b32 s33, s0
	s_waitcnt vmcnt(0)
	s_setpc_b64 s[30:31]
.LBB5_22:
	s_trap 2
	s_sendmsg_rtn_b32 s0, sendmsg(MSG_RTN_GET_DOORBELL)
	s_mov_b32 ttmp2, m0
	s_waitcnt lgkmcnt(0)
	s_and_b32 s0, s0, 0x3ff
	s_delay_alu instid0(SALU_CYCLE_1) | instskip(NEXT) | instid1(SALU_CYCLE_1)
	s_bitset1_b32 s0, 10
	s_mov_b32 m0, s0
	s_sendmsg sendmsg(MSG_INTERRUPT)
	s_mov_b32 m0, ttmp2
.LBB5_23:                               ; =>This Inner Loop Header: Depth=1
	s_sethalt 5
	s_branch .LBB5_23
.LBB5_24:
	s_trap 2
	s_sendmsg_rtn_b32 s0, sendmsg(MSG_RTN_GET_DOORBELL)
	s_mov_b32 ttmp2, m0
	s_waitcnt lgkmcnt(0)
	s_and_b32 s0, s0, 0x3ff
	s_delay_alu instid0(SALU_CYCLE_1) | instskip(NEXT) | instid1(SALU_CYCLE_1)
	s_bitset1_b32 s0, 10
	s_mov_b32 m0, s0
	s_sendmsg sendmsg(MSG_INTERRUPT)
	s_mov_b32 m0, ttmp2
.LBB5_25:                               ; =>This Inner Loop Header: Depth=1
	s_sethalt 5
	s_branch .LBB5_25
.LBB5_26:
	s_trap 2
	s_sendmsg_rtn_b32 s0, sendmsg(MSG_RTN_GET_DOORBELL)
	s_mov_b32 ttmp2, m0
	s_waitcnt lgkmcnt(0)
	s_and_b32 s0, s0, 0x3ff
	s_delay_alu instid0(SALU_CYCLE_1) | instskip(NEXT) | instid1(SALU_CYCLE_1)
	s_bitset1_b32 s0, 10
	s_mov_b32 m0, s0
	s_sendmsg sendmsg(MSG_INTERRUPT)
	s_mov_b32 m0, ttmp2
.LBB5_27:                               ; =>This Inner Loop Header: Depth=1
	s_sethalt 5
	s_branch .LBB5_27
.LBB5_28:
	s_trap 2
	s_sendmsg_rtn_b32 s0, sendmsg(MSG_RTN_GET_DOORBELL)
	s_mov_b32 ttmp2, m0
	s_waitcnt lgkmcnt(0)
	s_and_b32 s0, s0, 0x3ff
	s_delay_alu instid0(SALU_CYCLE_1) | instskip(NEXT) | instid1(SALU_CYCLE_1)
	s_bitset1_b32 s0, 10
	s_mov_b32 m0, s0
	s_sendmsg sendmsg(MSG_INTERRUPT)
	s_mov_b32 m0, ttmp2
.LBB5_29:                               ; =>This Inner Loop Header: Depth=1
	s_sethalt 5
	s_branch .LBB5_29
.LBB5_30:
	s_trap 2
	s_sendmsg_rtn_b32 s0, sendmsg(MSG_RTN_GET_DOORBELL)
	s_mov_b32 ttmp2, m0
	s_waitcnt lgkmcnt(0)
	s_and_b32 s0, s0, 0x3ff
	s_delay_alu instid0(SALU_CYCLE_1) | instskip(NEXT) | instid1(SALU_CYCLE_1)
	s_bitset1_b32 s0, 10
	s_mov_b32 m0, s0
	s_sendmsg sendmsg(MSG_INTERRUPT)
	s_mov_b32 m0, ttmp2
.LBB5_31:                               ; =>This Inner Loop Header: Depth=1
	s_sethalt 5
	s_branch .LBB5_31
.Lfunc_end5:
	.size	_Z56ncclDevFunc_ReduceScatter_RING_LL_PreMulSum_f8e4m3_0_0_4v, .Lfunc_end5-_Z56ncclDevFunc_ReduceScatter_RING_LL_PreMulSum_f8e4m3_0_0_4v
                                        ; -- End function
	.section	.AMDGPU.csdata,"",@progbits
; Function info:
; codeLenInByte = 976
; NumSgprs: 39
; NumVgprs: 177
; ScratchSize: 16
; MemoryBound: 0
	.text
	.p2alignl 7, 3214868480
	.fill 96, 4, 3214868480
	.type	__hip_cuid_a78131099e8dcbe5,@object ; @__hip_cuid_a78131099e8dcbe5
	.section	.bss,"aw",@nobits
	.globl	__hip_cuid_a78131099e8dcbe5
__hip_cuid_a78131099e8dcbe5:
	.byte	0                               ; 0x0
	.size	__hip_cuid_a78131099e8dcbe5, 1

	.ident	"AMD clang version 19.0.0git (https://github.com/RadeonOpenCompute/llvm-project roc-6.4.0 25133 c7fe45cf4b819c5991fe208aaa96edf142730f1d)"
	.section	".note.GNU-stack","",@progbits
	.addrsig
	.addrsig_sym _Z56ncclDevFunc_ReduceScatter_RING_LL_PreMulSum_f8e4m3_0_0_1v
	.addrsig_sym _Z56ncclDevFunc_ReduceScatter_RING_LL_PreMulSum_f8e4m3_0_0_2v
	.addrsig_sym _Z56ncclDevFunc_ReduceScatter_RING_LL_PreMulSum_f8e4m3_0_0_4v
	.addrsig_sym ncclShmem
	.addrsig_sym __hip_cuid_a78131099e8dcbe5
	.amdgpu_metadata
---
amdhsa.kernels:  []
amdhsa.target:   amdgcn-amd-amdhsa--gfx1100
amdhsa.version:
  - 1
  - 2
...

	.end_amdgpu_metadata
